;; amdgpu-corpus repo=ROCm/rocFFT kind=compiled arch=gfx1030 opt=O3
	.text
	.amdgcn_target "amdgcn-amd-amdhsa--gfx1030"
	.amdhsa_code_object_version 6
	.protected	fft_rtc_back_len1188_factors_6_11_2_3_3_wgs_198_tpt_66_halfLds_half_ip_CI_sbrr_dirReg ; -- Begin function fft_rtc_back_len1188_factors_6_11_2_3_3_wgs_198_tpt_66_halfLds_half_ip_CI_sbrr_dirReg
	.globl	fft_rtc_back_len1188_factors_6_11_2_3_3_wgs_198_tpt_66_halfLds_half_ip_CI_sbrr_dirReg
	.p2align	8
	.type	fft_rtc_back_len1188_factors_6_11_2_3_3_wgs_198_tpt_66_halfLds_half_ip_CI_sbrr_dirReg,@function
fft_rtc_back_len1188_factors_6_11_2_3_3_wgs_198_tpt_66_halfLds_half_ip_CI_sbrr_dirReg: ; @fft_rtc_back_len1188_factors_6_11_2_3_3_wgs_198_tpt_66_halfLds_half_ip_CI_sbrr_dirReg
; %bb.0:
	s_clause 0x1
	s_load_dwordx2 s[14:15], s[4:5], 0x18
	s_load_dwordx4 s[8:11], s[4:5], 0x0
	v_mul_u32_u24_e32 v1, 0x3e1, v0
	v_mov_b32_e32 v5, 0
	v_mov_b32_e32 v3, 0
	v_mov_b32_e32 v4, 0
	s_load_dwordx2 s[12:13], s[4:5], 0x50
	s_waitcnt lgkmcnt(0)
	s_load_dwordx2 s[2:3], s[14:15], 0x0
	v_lshrrev_b32_e32 v1, 16, v1
	v_cmp_lt_u64_e64 s0, s[10:11], 2
	v_mad_u64_u32 v[1:2], null, s6, 3, v[1:2]
	v_mov_b32_e32 v2, v5
	s_and_b32 vcc_lo, exec_lo, s0
	v_mov_b32_e32 v10, v2
	v_mov_b32_e32 v9, v1
	s_cbranch_vccnz .LBB0_8
; %bb.1:
	s_load_dwordx2 s[0:1], s[4:5], 0x10
	v_mov_b32_e32 v3, 0
	v_mov_b32_e32 v8, v2
	s_add_u32 s6, s14, 8
	v_mov_b32_e32 v4, 0
	v_mov_b32_e32 v7, v1
	s_addc_u32 s7, s15, 0
	s_mov_b64 s[18:19], 1
	s_waitcnt lgkmcnt(0)
	s_add_u32 s16, s0, 8
	s_addc_u32 s17, s1, 0
.LBB0_2:                                ; =>This Inner Loop Header: Depth=1
	s_load_dwordx2 s[20:21], s[16:17], 0x0
                                        ; implicit-def: $vgpr9_vgpr10
	s_mov_b32 s0, exec_lo
	s_waitcnt lgkmcnt(0)
	v_or_b32_e32 v6, s21, v8
	v_cmpx_ne_u64_e32 0, v[5:6]
	s_xor_b32 s1, exec_lo, s0
	s_cbranch_execz .LBB0_4
; %bb.3:                                ;   in Loop: Header=BB0_2 Depth=1
	v_cvt_f32_u32_e32 v2, s20
	v_cvt_f32_u32_e32 v6, s21
	s_sub_u32 s0, 0, s20
	s_subb_u32 s22, 0, s21
	v_fmac_f32_e32 v2, 0x4f800000, v6
	v_rcp_f32_e32 v2, v2
	v_mul_f32_e32 v2, 0x5f7ffffc, v2
	v_mul_f32_e32 v6, 0x2f800000, v2
	v_trunc_f32_e32 v6, v6
	v_fmac_f32_e32 v2, 0xcf800000, v6
	v_cvt_u32_f32_e32 v6, v6
	v_cvt_u32_f32_e32 v2, v2
	v_mul_lo_u32 v9, s0, v6
	v_mul_hi_u32 v10, s0, v2
	v_mul_lo_u32 v11, s22, v2
	v_add_nc_u32_e32 v9, v10, v9
	v_mul_lo_u32 v10, s0, v2
	v_add_nc_u32_e32 v9, v9, v11
	v_mul_hi_u32 v11, v2, v10
	v_mul_lo_u32 v12, v2, v9
	v_mul_hi_u32 v13, v2, v9
	v_mul_hi_u32 v14, v6, v10
	v_mul_lo_u32 v10, v6, v10
	v_mul_hi_u32 v15, v6, v9
	v_mul_lo_u32 v9, v6, v9
	v_add_co_u32 v11, vcc_lo, v11, v12
	v_add_co_ci_u32_e32 v12, vcc_lo, 0, v13, vcc_lo
	v_add_co_u32 v10, vcc_lo, v11, v10
	v_add_co_ci_u32_e32 v10, vcc_lo, v12, v14, vcc_lo
	v_add_co_ci_u32_e32 v11, vcc_lo, 0, v15, vcc_lo
	v_add_co_u32 v9, vcc_lo, v10, v9
	v_add_co_ci_u32_e32 v10, vcc_lo, 0, v11, vcc_lo
	v_add_co_u32 v2, vcc_lo, v2, v9
	v_add_co_ci_u32_e32 v6, vcc_lo, v6, v10, vcc_lo
	v_mul_hi_u32 v9, s0, v2
	v_mul_lo_u32 v11, s22, v2
	v_mul_lo_u32 v10, s0, v6
	v_add_nc_u32_e32 v9, v9, v10
	v_mul_lo_u32 v10, s0, v2
	v_add_nc_u32_e32 v9, v9, v11
	v_mul_hi_u32 v11, v2, v10
	v_mul_lo_u32 v12, v2, v9
	v_mul_hi_u32 v13, v2, v9
	v_mul_hi_u32 v14, v6, v10
	v_mul_lo_u32 v10, v6, v10
	v_mul_hi_u32 v15, v6, v9
	v_mul_lo_u32 v9, v6, v9
	v_add_co_u32 v11, vcc_lo, v11, v12
	v_add_co_ci_u32_e32 v12, vcc_lo, 0, v13, vcc_lo
	v_add_co_u32 v10, vcc_lo, v11, v10
	v_add_co_ci_u32_e32 v10, vcc_lo, v12, v14, vcc_lo
	v_add_co_ci_u32_e32 v11, vcc_lo, 0, v15, vcc_lo
	v_add_co_u32 v9, vcc_lo, v10, v9
	v_add_co_ci_u32_e32 v10, vcc_lo, 0, v11, vcc_lo
	v_add_co_u32 v2, vcc_lo, v2, v9
	v_add_co_ci_u32_e32 v6, vcc_lo, v6, v10, vcc_lo
	v_mul_hi_u32 v15, v7, v2
	v_mad_u64_u32 v[11:12], null, v8, v2, 0
	v_mad_u64_u32 v[9:10], null, v7, v6, 0
	v_mad_u64_u32 v[13:14], null, v8, v6, 0
	v_add_co_u32 v2, vcc_lo, v15, v9
	v_add_co_ci_u32_e32 v6, vcc_lo, 0, v10, vcc_lo
	v_add_co_u32 v2, vcc_lo, v2, v11
	v_add_co_ci_u32_e32 v2, vcc_lo, v6, v12, vcc_lo
	v_add_co_ci_u32_e32 v6, vcc_lo, 0, v14, vcc_lo
	v_add_co_u32 v2, vcc_lo, v2, v13
	v_add_co_ci_u32_e32 v6, vcc_lo, 0, v6, vcc_lo
	v_mul_lo_u32 v11, s21, v2
	v_mad_u64_u32 v[9:10], null, s20, v2, 0
	v_mul_lo_u32 v12, s20, v6
	v_sub_co_u32 v9, vcc_lo, v7, v9
	v_add3_u32 v10, v10, v12, v11
	v_sub_nc_u32_e32 v11, v8, v10
	v_subrev_co_ci_u32_e64 v11, s0, s21, v11, vcc_lo
	v_add_co_u32 v12, s0, v2, 2
	v_add_co_ci_u32_e64 v13, s0, 0, v6, s0
	v_sub_co_u32 v14, s0, v9, s20
	v_sub_co_ci_u32_e32 v10, vcc_lo, v8, v10, vcc_lo
	v_subrev_co_ci_u32_e64 v11, s0, 0, v11, s0
	v_cmp_le_u32_e32 vcc_lo, s20, v14
	v_cmp_eq_u32_e64 s0, s21, v10
	v_cndmask_b32_e64 v14, 0, -1, vcc_lo
	v_cmp_le_u32_e32 vcc_lo, s21, v11
	v_cndmask_b32_e64 v15, 0, -1, vcc_lo
	v_cmp_le_u32_e32 vcc_lo, s20, v9
	;; [unrolled: 2-line block ×3, first 2 shown]
	v_cndmask_b32_e64 v16, 0, -1, vcc_lo
	v_cmp_eq_u32_e32 vcc_lo, s21, v11
	v_cndmask_b32_e64 v9, v16, v9, s0
	v_cndmask_b32_e32 v11, v15, v14, vcc_lo
	v_add_co_u32 v14, vcc_lo, v2, 1
	v_add_co_ci_u32_e32 v15, vcc_lo, 0, v6, vcc_lo
	v_cmp_ne_u32_e32 vcc_lo, 0, v11
	v_cndmask_b32_e32 v10, v15, v13, vcc_lo
	v_cndmask_b32_e32 v11, v14, v12, vcc_lo
	v_cmp_ne_u32_e32 vcc_lo, 0, v9
	v_cndmask_b32_e32 v10, v6, v10, vcc_lo
	v_cndmask_b32_e32 v9, v2, v11, vcc_lo
.LBB0_4:                                ;   in Loop: Header=BB0_2 Depth=1
	s_andn2_saveexec_b32 s0, s1
	s_cbranch_execz .LBB0_6
; %bb.5:                                ;   in Loop: Header=BB0_2 Depth=1
	v_cvt_f32_u32_e32 v2, s20
	s_sub_i32 s1, 0, s20
	v_rcp_iflag_f32_e32 v2, v2
	v_mul_f32_e32 v2, 0x4f7ffffe, v2
	v_cvt_u32_f32_e32 v2, v2
	v_mul_lo_u32 v6, s1, v2
	v_mul_hi_u32 v6, v2, v6
	v_add_nc_u32_e32 v2, v2, v6
	v_mul_hi_u32 v2, v7, v2
	v_mul_lo_u32 v6, v2, s20
	v_add_nc_u32_e32 v9, 1, v2
	v_sub_nc_u32_e32 v6, v7, v6
	v_subrev_nc_u32_e32 v10, s20, v6
	v_cmp_le_u32_e32 vcc_lo, s20, v6
	v_cndmask_b32_e32 v6, v6, v10, vcc_lo
	v_cndmask_b32_e32 v2, v2, v9, vcc_lo
	v_mov_b32_e32 v10, v5
	v_cmp_le_u32_e32 vcc_lo, s20, v6
	v_add_nc_u32_e32 v9, 1, v2
	v_cndmask_b32_e32 v9, v2, v9, vcc_lo
.LBB0_6:                                ;   in Loop: Header=BB0_2 Depth=1
	s_or_b32 exec_lo, exec_lo, s0
	s_load_dwordx2 s[0:1], s[6:7], 0x0
	v_mul_lo_u32 v2, v10, s20
	v_mul_lo_u32 v6, v9, s21
	v_mad_u64_u32 v[11:12], null, v9, s20, 0
	s_add_u32 s18, s18, 1
	s_addc_u32 s19, s19, 0
	s_add_u32 s6, s6, 8
	s_addc_u32 s7, s7, 0
	s_add_u32 s16, s16, 8
	s_addc_u32 s17, s17, 0
	v_add3_u32 v2, v12, v6, v2
	v_sub_co_u32 v6, vcc_lo, v7, v11
	v_sub_co_ci_u32_e32 v2, vcc_lo, v8, v2, vcc_lo
	s_waitcnt lgkmcnt(0)
	v_mul_lo_u32 v7, s1, v6
	v_mul_lo_u32 v2, s0, v2
	v_mad_u64_u32 v[3:4], null, s0, v6, v[3:4]
	v_cmp_ge_u64_e64 s0, s[18:19], s[10:11]
	s_and_b32 vcc_lo, exec_lo, s0
	v_add3_u32 v4, v7, v4, v2
	s_cbranch_vccnz .LBB0_8
; %bb.7:                                ;   in Loop: Header=BB0_2 Depth=1
	v_mov_b32_e32 v7, v9
	v_mov_b32_e32 v8, v10
	s_branch .LBB0_2
.LBB0_8:
	s_lshl_b64 s[0:1], s[10:11], 3
	v_mul_hi_u32 v2, 0x3e0f83f, v0
	s_add_u32 s0, s14, s0
	s_addc_u32 s1, s15, s1
                                        ; implicit-def: $vgpr24
	s_load_dwordx2 s[0:1], s[0:1], 0x0
	s_load_dwordx2 s[4:5], s[4:5], 0x20
	v_mul_u32_u24_e32 v5, 0x42, v2
	v_sub_nc_u32_e32 v0, v0, v5
	v_add_nc_u32_e32 v11, 0x42, v0
	v_add_nc_u32_e32 v12, 0x84, v0
	s_waitcnt lgkmcnt(0)
	v_mul_lo_u32 v6, s0, v10
	v_mul_lo_u32 v7, s1, v9
	v_mad_u64_u32 v[2:3], null, s0, v9, v[3:4]
	v_cmp_gt_u64_e32 vcc_lo, s[4:5], v[9:10]
	v_cmp_le_u64_e64 s0, s[4:5], v[9:10]
	v_add3_u32 v3, v7, v3, v6
                                        ; implicit-def: $vgpr7
	s_and_saveexec_b32 s1, s0
	s_xor_b32 s0, exec_lo, s1
; %bb.9:
	v_add_nc_u32_e32 v24, 0x42, v0
	v_add_nc_u32_e32 v7, 0x84, v0
; %bb.10:
	s_or_saveexec_b32 s1, s0
	v_lshlrev_b64 v[2:3], 2, v[2:3]
	v_add_nc_u32_e32 v13, 0xc6, v0
	v_add_nc_u32_e32 v16, 0x18c, v0
	;; [unrolled: 1-line block ×8, first 2 shown]
                                        ; implicit-def: $vgpr56
                                        ; implicit-def: $vgpr4
                                        ; implicit-def: $vgpr65
                                        ; implicit-def: $vgpr22
                                        ; implicit-def: $vgpr69
                                        ; implicit-def: $vgpr26
                                        ; implicit-def: $vgpr68
                                        ; implicit-def: $vgpr9
                                        ; implicit-def: $vgpr66
                                        ; implicit-def: $vgpr27
                                        ; implicit-def: $vgpr67
                                        ; implicit-def: $vgpr8
                                        ; implicit-def: $vgpr31
                                        ; implicit-def: $vgpr6
                                        ; implicit-def: $vgpr60
                                        ; implicit-def: $vgpr21
                                        ; implicit-def: $vgpr63
                                        ; implicit-def: $vgpr25
                                        ; implicit-def: $vgpr64
                                        ; implicit-def: $vgpr29
                                        ; implicit-def: $vgpr62
                                        ; implicit-def: $vgpr42
                                        ; implicit-def: $vgpr61
                                        ; implicit-def: $vgpr28
                                        ; implicit-def: $vgpr34
                                        ; implicit-def: $vgpr19
                                        ; implicit-def: $vgpr41
                                        ; implicit-def: $vgpr30
                                        ; implicit-def: $vgpr58
                                        ; implicit-def: $vgpr37
                                        ; implicit-def: $vgpr57
                                        ; implicit-def: $vgpr23
                                        ; implicit-def: $vgpr59
                                        ; implicit-def: $vgpr40
                                        ; implicit-def: $vgpr44
                                        ; implicit-def: $vgpr20
	s_xor_b32 exec_lo, exec_lo, s1
	s_cbranch_execz .LBB0_12
; %bb.11:
	v_mad_u64_u32 v[6:7], null, s2, v0, 0
	v_mad_u64_u32 v[8:9], null, s2, v13, 0
	v_add_nc_u32_e32 v26, 0x252, v0
	v_mad_u64_u32 v[19:20], null, s2, v16, 0
	v_add_nc_u32_e32 v31, 0x3de, v0
	v_mov_b32_e32 v4, v7
	v_add_co_u32 v47, s0, s12, v2
	v_add_co_ci_u32_e64 v48, s0, s13, v3, s0
	v_mad_u64_u32 v[21:22], null, s3, v0, v[4:5]
	v_mov_b32_e32 v4, v9
	v_mad_u64_u32 v[22:23], null, s2, v26, 0
	v_mov_b32_e32 v9, v20
	v_mad_u64_u32 v[29:30], null, s2, v11, 0
	v_mad_u64_u32 v[24:25], null, s3, v13, v[4:5]
	v_mov_b32_e32 v7, v21
	v_mov_b32_e32 v4, v23
	v_mad_u64_u32 v[20:21], null, s3, v16, v[9:10]
	v_add_nc_u32_e32 v40, 0x294, v0
	v_lshlrev_b64 v[6:7], 2, v[6:7]
	v_mov_b32_e32 v9, v24
	v_mad_u64_u32 v[24:25], null, s2, v17, 0
	v_mad_u64_u32 v[26:27], null, s3, v26, v[4:5]
	;; [unrolled: 1-line block ×3, first 2 shown]
	v_lshlrev_b64 v[8:9], 2, v[8:9]
	v_add_co_u32 v6, s0, v47, v6
	v_mov_b32_e32 v4, v25
	v_mov_b32_e32 v23, v26
	v_lshlrev_b64 v[19:20], 2, v[19:20]
	v_add_co_ci_u32_e64 v7, s0, v48, v7, s0
	v_mad_u64_u32 v[25:26], null, s3, v17, v[4:5]
	v_mov_b32_e32 v4, v28
	v_add_co_u32 v8, s0, v47, v8
	v_lshlrev_b64 v[21:22], 2, v[22:23]
	v_add_co_ci_u32_e64 v9, s0, v48, v9, s0
	v_add_co_u32 v19, s0, v47, v19
	v_mad_u64_u32 v[31:32], null, s3, v31, v[4:5]
	v_add_co_ci_u32_e64 v20, s0, v48, v20, s0
	v_mov_b32_e32 v4, v30
	v_mad_u64_u32 v[32:33], null, s2, v14, 0
	v_add_co_u32 v34, s0, v47, v21
	v_add_co_ci_u32_e64 v35, s0, v48, v22, s0
	v_lshlrev_b64 v[21:22], 2, v[24:25]
	v_mov_b32_e32 v28, v31
	v_mad_u64_u32 v[23:24], null, s3, v11, v[4:5]
	v_mad_u64_u32 v[24:25], null, s2, v18, 0
	v_mov_b32_e32 v4, v33
	v_add_co_u32 v36, s0, v47, v21
	v_add_co_ci_u32_e64 v37, s0, v48, v22, s0
	v_lshlrev_b64 v[21:22], 2, v[27:28]
	v_mov_b32_e32 v30, v23
	v_mad_u64_u32 v[26:27], null, s3, v14, v[4:5]
	v_mov_b32_e32 v4, v25
	v_add_nc_u32_e32 v49, 0x420, v0
	v_add_co_u32 v38, s0, v47, v21
	v_add_co_ci_u32_e64 v39, s0, v48, v22, s0
	v_lshlrev_b64 v[21:22], 2, v[29:30]
	v_mad_u64_u32 v[27:28], null, s3, v18, v[4:5]
	v_mad_u64_u32 v[28:29], null, s2, v40, 0
	v_mov_b32_e32 v33, v26
	v_add_co_u32 v30, s0, v47, v21
	v_add_co_ci_u32_e64 v31, s0, v48, v22, s0
	v_lshlrev_b64 v[21:22], 2, v[32:33]
	v_mad_u64_u32 v[32:33], null, s2, v15, 0
	v_mov_b32_e32 v25, v27
	v_mov_b32_e32 v4, v29
	v_mad_u64_u32 v[45:46], null, s2, v12, 0
	v_lshlrev_b64 v[23:24], 2, v[24:25]
	v_mad_u64_u32 v[25:26], null, s3, v40, v[4:5]
	v_mov_b32_e32 v4, v33
	v_add_co_u32 v40, s0, v47, v21
	v_add_co_ci_u32_e64 v41, s0, v48, v22, s0
	v_mad_u64_u32 v[42:43], null, s3, v15, v[4:5]
	s_clause 0x7
	global_load_dword v4, v[6:7], off
	global_load_dword v22, v[8:9], off
	;; [unrolled: 1-line block ×8, first 2 shown]
	v_mad_u64_u32 v[43:44], null, s2, v49, 0
	v_add_co_u32 v23, s0, v47, v23
	v_add_co_ci_u32_e64 v24, s0, v48, v24, s0
	v_mov_b32_e32 v29, v25
	v_mov_b32_e32 v33, v42
	;; [unrolled: 1-line block ×3, first 2 shown]
	global_load_dword v25, v[23:24], off
	v_lshlrev_b64 v[19:20], 2, v[28:29]
	v_lshlrev_b64 v[28:29], 2, v[32:33]
	v_mad_u64_u32 v[33:34], null, s2, v5, 0
	v_add_co_u32 v19, s0, v47, v19
	v_add_co_ci_u32_e64 v20, s0, v48, v20, s0
	s_waitcnt vmcnt(8)
	v_lshrrev_b32_e32 v56, 16, v4
	s_waitcnt vmcnt(7)
	v_lshrrev_b32_e32 v65, 16, v22
	;; [unrolled: 2-line block ×5, first 2 shown]
	s_waitcnt vmcnt(3)
	v_mad_u64_u32 v[23:24], null, s3, v49, v[7:8]
	v_mov_b32_e32 v7, v46
	v_add_nc_u32_e32 v49, 0x39c, v0
	v_lshrrev_b32_e32 v67, 16, v8
	s_waitcnt vmcnt(1)
	v_lshrrev_b32_e32 v60, 16, v21
	v_mad_u64_u32 v[30:31], null, s3, v12, v[7:8]
	v_mad_u64_u32 v[31:32], null, s2, v10, 0
	v_mov_b32_e32 v44, v23
	v_add_co_u32 v23, s0, v47, v28
	v_add_co_ci_u32_e64 v24, s0, v48, v29, s0
	v_mov_b32_e32 v46, v30
	v_mov_b32_e32 v7, v32
	v_add_nc_u32_e32 v30, 0x2d6, v0
	v_lshlrev_b64 v[28:29], 2, v[43:44]
	v_mad_u64_u32 v[40:41], null, s2, v49, 0
	v_mad_u64_u32 v[35:36], null, s3, v10, v[7:8]
	;; [unrolled: 1-line block ×3, first 2 shown]
	v_mov_b32_e32 v7, v34
	v_add_co_u32 v38, s0, v47, v28
	v_add_co_ci_u32_e64 v39, s0, v48, v29, s0
	v_mov_b32_e32 v32, v35
	v_mad_u64_u32 v[34:35], null, s3, v5, v[7:8]
	v_mov_b32_e32 v7, v37
	v_add_nc_u32_e32 v35, 0x462, v0
	v_lshlrev_b64 v[28:29], 2, v[45:46]
	s_waitcnt vmcnt(0)
	v_lshrrev_b32_e32 v63, 16, v25
	v_mad_u64_u32 v[42:43], null, s3, v30, v[7:8]
	v_mad_u64_u32 v[43:44], null, s2, v35, 0
	v_add_co_u32 v45, s0, v47, v28
	v_mov_b32_e32 v7, v41
	v_add_co_ci_u32_e64 v46, s0, v48, v29, s0
	v_lshlrev_b64 v[28:29], 2, v[31:32]
	v_mov_b32_e32 v37, v42
	v_mad_u64_u32 v[30:31], null, s3, v49, v[7:8]
	v_mov_b32_e32 v7, v44
	v_add_co_u32 v31, s0, v47, v28
	v_add_co_ci_u32_e64 v32, s0, v48, v29, s0
	v_lshlrev_b64 v[28:29], 2, v[33:34]
	v_mad_u64_u32 v[33:34], null, s3, v35, v[7:8]
	v_mov_b32_e32 v41, v30
	v_lshlrev_b64 v[34:35], 2, v[36:37]
	v_mov_b32_e32 v7, v12
	v_add_co_u32 v36, s0, v47, v28
	v_add_co_ci_u32_e64 v37, s0, v48, v29, s0
	v_mov_b32_e32 v44, v33
	v_lshlrev_b64 v[28:29], 2, v[40:41]
	v_add_co_u32 v33, s0, v47, v34
	v_add_co_ci_u32_e64 v34, s0, v48, v35, s0
	v_lshlrev_b64 v[40:41], 2, v[43:44]
	v_add_co_u32 v43, s0, v47, v28
	v_add_co_ci_u32_e64 v44, s0, v48, v29, s0
	v_add_co_u32 v47, s0, v47, v40
	v_add_co_ci_u32_e64 v48, s0, v48, v41, s0
	s_clause 0x8
	global_load_dword v29, v[19:20], off
	global_load_dword v42, v[23:24], off
	;; [unrolled: 1-line block ×9, first 2 shown]
	v_lshrrev_b32_e32 v31, 16, v6
	v_mov_b32_e32 v24, v11
	s_waitcnt vmcnt(8)
	v_lshrrev_b32_e32 v64, 16, v29
	s_waitcnt vmcnt(7)
	v_lshrrev_b32_e32 v62, 16, v42
	;; [unrolled: 2-line block ×9, first 2 shown]
.LBB0_12:
	s_or_b32 exec_lo, exec_lo, s1
	v_mul_hi_u32 v32, 0xaaaaaaab, v1
	v_add_f16_e32 v35, v26, v27
	v_add_f16_e32 v43, v9, v8
	;; [unrolled: 1-line block ×3, first 2 shown]
	v_sub_f16_e32 v36, v69, v66
	v_add_f16_e32 v38, v22, v9
	v_add_f16_e32 v39, v68, v67
	v_sub_f16_e32 v45, v68, v67
	v_lshrrev_b32_e32 v32, 1, v32
	v_fmac_f16_e32 v22, -0.5, v43
	v_fmac_f16_e32 v4, -0.5, v35
	v_sub_f16_e32 v9, v9, v8
	v_fma_f16 v70, -0.5, v39, v65
	v_lshl_add_u32 v32, v32, 1, v32
	v_add_f16_e32 v33, v33, v27
	v_fmamk_f16 v72, v45, 0xbaee, v22
	v_fmac_f16_e32 v22, 0x3aee, v45
	v_fmamk_f16 v35, v36, 0xbaee, v4
	v_sub_nc_u32_e32 v1, v1, v32
	v_add_f16_e32 v8, v38, v8
	v_fmac_f16_e32 v4, 0x3aee, v36
	v_add_f16_e32 v45, v64, v61
	v_fmamk_f16 v71, v9, 0x3aee, v70
	v_mul_u32_u24_e32 v36, 0x4a4, v1
	v_add_f16_e32 v1, v6, v25
	v_add_f16_e32 v38, v33, v8
	v_sub_f16_e32 v46, v33, v8
	v_add_f16_e32 v33, v29, v28
	v_fmac_f16_e32 v70, 0xbaee, v9
	v_add_f16_e32 v8, v1, v42
	v_fma_f16 v1, -0.5, v45, v60
	v_sub_f16_e32 v45, v29, v28
	v_mul_f16_e32 v9, 0xbaee, v71
	v_add_f16_e32 v47, v25, v42
	v_add_f16_e32 v29, v21, v29
	v_fmac_f16_e32 v21, -0.5, v33
	v_sub_f16_e32 v33, v64, v61
	v_fmamk_f16 v73, v45, 0x3aee, v1
	v_fmac_f16_e32 v1, 0xbaee, v45
	v_fmac_f16_e32 v9, 0.5, v72
	v_fmac_f16_e32 v6, -0.5, v47
	v_sub_f16_e32 v45, v63, v62
	v_fmamk_f16 v74, v33, 0xbaee, v21
	v_fmac_f16_e32 v21, 0x3aee, v33
	v_mul_f16_e32 v47, 0xbaee, v1
	v_add_f16_e32 v39, v35, v9
	v_fmamk_f16 v48, v45, 0xbaee, v6
	v_fmac_f16_e32 v6, 0x3aee, v45
	v_add_f16_e32 v28, v29, v28
	v_fmac_f16_e32 v47, -0.5, v21
	v_sub_f16_e32 v35, v35, v9
	v_add_f16_e32 v9, v37, v40
	v_mul_f16_e32 v32, 0xbaee, v70
	v_add_f16_e32 v45, v8, v28
	v_add_f16_e32 v50, v6, v47
	v_sub_f16_e32 v51, v8, v28
	v_sub_f16_e32 v8, v6, v47
	v_add_f16_e32 v6, v57, v44
	v_add_f16_e32 v28, v19, v37
	v_fmac_f16_e32 v19, -0.5, v9
	v_add_f16_e32 v9, v23, v20
	v_fmac_f16_e32 v32, -0.5, v22
	v_fma_f16 v75, -0.5, v6, v41
	v_sub_f16_e32 v6, v23, v20
	v_add_f16_e32 v23, v30, v23
	v_fmac_f16_e32 v30, -0.5, v9
	v_sub_f16_e32 v9, v57, v44
	v_add_f16_e32 v43, v4, v32
	v_fmamk_f16 v77, v6, 0x3aee, v75
	v_fmac_f16_e32 v75, 0xbaee, v6
	v_mul_f16_e32 v33, 0xbaee, v73
	v_fmamk_f16 v78, v9, 0xbaee, v30
	v_fmac_f16_e32 v30, 0x3aee, v9
	v_lshlrev_b32_e32 v9, 1, v36
	v_sub_f16_e32 v29, v58, v59
	v_add_f16_e32 v28, v28, v40
	v_mul_f16_e32 v47, 0xbaee, v77
	v_add_f16_e32 v20, v23, v20
	v_mul_u32_u24_e32 v23, 6, v0
	v_add_nc_u32_e32 v53, 0, v9
	v_sub_f16_e32 v4, v4, v32
	v_mul_f16_e32 v52, 0xbaee, v75
	v_fmac_f16_e32 v33, 0.5, v74
	v_fmamk_f16 v6, v29, 0xbaee, v19
	v_fmac_f16_e32 v19, 0x3aee, v29
	v_fmac_f16_e32 v47, 0.5, v78
	v_add_f16_e32 v29, v28, v20
	v_sub_f16_e32 v28, v28, v20
	v_lshl_add_u32 v76, v23, 1, v53
	v_pack_b32_f16 v20, v43, v46
	v_pack_b32_f16 v23, v38, v39
	;; [unrolled: 1-line block ×3, first 2 shown]
	v_fmac_f16_e32 v52, -0.5, v30
	v_add_f16_e32 v49, v48, v33
	v_add_f16_e32 v32, v6, v47
	v_sub_f16_e32 v36, v6, v47
	v_mul_i32_i24_e32 v6, 6, v24
	ds_write2_b32 v76, v23, v20 offset1:1
	ds_write_b32 v76, v4 offset:8
	v_mul_i32_i24_e32 v4, 6, v7
	v_sub_f16_e32 v48, v48, v33
	v_add_f16_e32 v33, v19, v52
	v_sub_f16_e32 v38, v19, v52
	v_lshl_add_u32 v79, v6, 1, v53
	v_pack_b32_f16 v6, v50, v51
	v_pack_b32_f16 v19, v45, v49
	v_lshl_add_u32 v80, v4, 1, v53
	v_lshlrev_b32_e32 v4, 1, v0
	v_pack_b32_f16 v20, v48, v8
	v_pack_b32_f16 v23, v33, v28
	;; [unrolled: 1-line block ×4, first 2 shown]
	ds_write2_b32 v79, v19, v6 offset1:1
	ds_write_b32 v79, v20 offset:8
	ds_write2_b32 v80, v35, v23 offset1:1
	ds_write_b32 v80, v39 offset:8
	v_add_nc_u32_e32 v19, v53, v4
	v_add3_u32 v20, 0, v4, v9
	s_waitcnt lgkmcnt(0)
	s_barrier
	buffer_gl0_inv
	ds_read_u16 v23, v19
	ds_read_u16 v51, v20 offset:216
	ds_read_u16 v50, v20 offset:432
	;; [unrolled: 1-line block ×10, first 2 shown]
	v_cmp_gt_u32_e64 s0, 42, v0
	v_lshlrev_b32_e32 v6, 1, v24
                                        ; implicit-def: $vgpr52
                                        ; implicit-def: $vgpr53
                                        ; implicit-def: $vgpr54
                                        ; implicit-def: $vgpr55
	s_and_saveexec_b32 s1, s0
	s_cbranch_execz .LBB0_14
; %bb.13:
	v_add3_u32 v8, 0, v6, v9
	ds_read_u16 v29, v20 offset:348
	ds_read_u16 v32, v20 offset:564
	;; [unrolled: 1-line block ×9, first 2 shown]
	ds_read_u16 v8, v8
	ds_read_u16 v52, v20 offset:2292
.LBB0_14:
	s_or_b32 exec_lo, exec_lo, s1
	v_add_f16_e32 v81, v69, v66
	v_mul_f16_e32 v1, -0.5, v1
	v_add_f16_e32 v69, v56, v69
	v_sub_f16_e32 v26, v26, v27
	v_add_f16_e32 v27, v65, v68
	v_mul_f16_e32 v65, 0x3aee, v72
	v_fmac_f16_e32 v56, -0.5, v81
	v_mul_f16_e32 v68, -0.5, v70
	v_add_f16_e32 v70, v63, v62
	v_fmac_f16_e32 v1, 0x3aee, v21
	v_add_f16_e32 v21, v58, v59
	v_add_f16_e32 v66, v69, v66
	v_add_f16_e32 v27, v27, v67
	v_fmac_f16_e32 v65, 0.5, v71
	v_fmamk_f16 v67, v26, 0x3aee, v56
	v_fmac_f16_e32 v68, 0x3aee, v22
	v_fmac_f16_e32 v56, 0xbaee, v26
	v_add_f16_e32 v63, v31, v63
	v_fmac_f16_e32 v31, -0.5, v70
	v_add_f16_e32 v60, v60, v64
	v_sub_f16_e32 v25, v25, v42
	v_mul_f16_e32 v42, 0x3aee, v74
	v_add_f16_e32 v58, v34, v58
	v_fmac_f16_e32 v34, -0.5, v21
	v_sub_f16_e32 v21, v37, v40
	v_add_f16_e32 v40, v41, v57
	v_mul_f16_e32 v41, 0x3aee, v78
	v_mul_f16_e32 v57, -0.5, v75
	v_add_f16_e32 v22, v66, v27
	v_add_f16_e32 v26, v67, v65
	;; [unrolled: 1-line block ×3, first 2 shown]
	v_sub_f16_e32 v27, v66, v27
	v_add_f16_e32 v60, v60, v61
	v_fmamk_f16 v61, v25, 0x3aee, v31
	v_fmac_f16_e32 v31, 0xbaee, v25
	v_add_f16_e32 v62, v63, v62
	v_fmac_f16_e32 v42, 0.5, v73
	v_add_f16_e32 v37, v58, v59
	v_fmamk_f16 v58, v21, 0x3aee, v34
	v_fmac_f16_e32 v34, 0xbaee, v21
	v_add_f16_e32 v40, v40, v44
	v_fmac_f16_e32 v41, 0.5, v77
	v_fmac_f16_e32 v57, 0x3aee, v30
	v_sub_f16_e32 v67, v67, v65
	v_sub_f16_e32 v56, v56, v68
	v_add_f16_e32 v71, v31, v1
	v_sub_f16_e32 v21, v31, v1
	v_pack_b32_f16 v1, v69, v27
	v_pack_b32_f16 v22, v22, v26
	v_add_f16_e32 v25, v62, v60
	v_add_f16_e32 v70, v61, v42
	v_sub_f16_e32 v60, v62, v60
	v_sub_f16_e32 v30, v61, v42
	v_add_f16_e32 v62, v37, v40
	v_add_f16_e32 v63, v58, v41
	;; [unrolled: 1-line block ×3, first 2 shown]
	v_sub_f16_e32 v65, v37, v40
	v_sub_f16_e32 v66, v58, v41
	;; [unrolled: 1-line block ×3, first 2 shown]
	s_waitcnt lgkmcnt(0)
	s_barrier
	buffer_gl0_inv
	ds_write2_b32 v76, v22, v1 offset1:1
	v_pack_b32_f16 v1, v67, v56
	v_pack_b32_f16 v22, v71, v60
	;; [unrolled: 1-line block ×7, first 2 shown]
	ds_write_b32 v76, v1 offset:8
	ds_write2_b32 v79, v25, v22 offset1:1
	ds_write_b32 v79, v26 offset:8
	ds_write2_b32 v80, v30, v27 offset1:1
	ds_write_b32 v80, v31 offset:8
	s_waitcnt lgkmcnt(0)
	s_barrier
	buffer_gl0_inv
	ds_read_u16 v22, v19
	ds_read_u16 v82, v20 offset:216
	ds_read_u16 v81, v20 offset:432
	;; [unrolled: 1-line block ×10, first 2 shown]
                                        ; implicit-def: $vgpr71
                                        ; implicit-def: $vgpr74
                                        ; implicit-def: $vgpr77
                                        ; implicit-def: $vgpr80
	s_and_saveexec_b32 s1, s0
	s_cbranch_execz .LBB0_16
; %bb.15:
	v_add3_u32 v1, 0, v6, v9
	ds_read_u16 v62, v20 offset:348
	ds_read_u16 v63, v20 offset:564
	;; [unrolled: 1-line block ×9, first 2 shown]
	ds_read_u16 v21, v1
	ds_read_u16 v71, v20 offset:2292
.LBB0_16:
	s_or_b32 exec_lo, exec_lo, s1
	v_and_b32_e32 v1, 0xff, v0
	v_and_b32_e32 v27, 0xff, v24
	v_mov_b32_e32 v26, 10
	v_mov_b32_e32 v58, 1
	v_mul_lo_u16 v1, 0xab, v1
	v_lshrrev_b16 v25, 10, v1
	v_mul_lo_u16 v1, v25, 6
	v_sub_nc_u16 v30, v0, v1
	v_mul_lo_u16 v1, 0xab, v27
	v_mul_u32_u24_sdwa v27, v30, v26 dst_sel:DWORD dst_unused:UNUSED_PAD src0_sel:BYTE_0 src1_sel:DWORD
	v_lshrrev_b16 v31, 10, v1
	v_lshlrev_b32_e32 v27, 2, v27
	v_mul_lo_u16 v1, v31, 6
	s_clause 0x1
	global_load_dwordx4 v[87:90], v27, s[8:9]
	global_load_dwordx4 v[91:94], v27, s[8:9] offset:16
	v_sub_nc_u16 v1, v24, v1
	v_mul_u32_u24_sdwa v24, v1, v26 dst_sel:DWORD dst_unused:UNUSED_PAD src0_sel:BYTE_0 src1_sel:DWORD
	v_lshlrev_b32_sdwa v26, v58, v30 dst_sel:DWORD dst_unused:UNUSED_PAD src0_sel:DWORD src1_sel:BYTE_0
	v_lshlrev_b32_e32 v24, 2, v24
	s_clause 0x3
	global_load_dwordx2 v[103:104], v27, s[8:9] offset:32
	global_load_dwordx4 v[95:98], v24, s[8:9]
	global_load_dwordx4 v[99:102], v24, s[8:9] offset:16
	global_load_dwordx2 v[105:106], v24, s[8:9] offset:32
	v_and_b32_e32 v24, 0xffff, v25
	s_waitcnt vmcnt(0) lgkmcnt(0)
	s_barrier
	buffer_gl0_inv
	v_mad_u32_u24 v25, 0x84, v24, 0
	v_and_b32_e32 v24, 0xffff, v31
	v_add3_u32 v41, v25, v26, v9
	v_mul_f16_sdwa v85, v82, v87 dst_sel:DWORD dst_unused:UNUSED_PAD src0_sel:DWORD src1_sel:WORD_1
	v_mul_f16_sdwa v107, v51, v87 dst_sel:DWORD dst_unused:UNUSED_PAD src0_sel:DWORD src1_sel:WORD_1
	;; [unrolled: 1-line block ×27, first 2 shown]
	v_fmac_f16_e32 v85, v51, v87
	v_fma_f16 v82, v82, v87, -v107
	v_fmac_f16_e32 v83, v50, v88
	v_fma_f16 v81, v81, v88, -v108
	;; [unrolled: 2-line block ×5, first 2 shown]
	v_fma_f16 v47, v76, v92, -v112
	v_fma_f16 v50, v75, v93, -v113
	v_fmac_f16_e32 v67, v48, v94
	v_fma_f16 v48, v72, v94, -v114
	v_fmac_f16_e32 v84, v46, v103
	v_fma_f16 v70, v70, v103, -v115
	v_fma_f16 v46, v69, v104, -v116
	v_mul_f16_sdwa v42, v62, v95 dst_sel:DWORD dst_unused:UNUSED_PAD src0_sel:DWORD src1_sel:WORD_1
	v_mul_f16_sdwa v117, v29, v95 dst_sel:DWORD dst_unused:UNUSED_PAD src0_sel:DWORD src1_sel:WORD_1
	;; [unrolled: 1-line block ×13, first 2 shown]
	v_fmac_f16_e32 v57, v39, v92
	v_fmac_f16_e32 v60, v35, v93
	;; [unrolled: 1-line block ×4, first 2 shown]
	v_fma_f16 v43, v63, v96, -v118
	v_fmac_f16_e32 v27, v28, v98
	v_fma_f16 v32, v65, v98, -v120
	v_fma_f16 v28, v66, v99, -v121
	v_fmac_f16_e32 v30, v55, v101
	v_fmac_f16_e32 v40, v53, v105
	v_sub_f16_e32 v53, v82, v46
	v_sub_f16_e32 v55, v81, v70
	;; [unrolled: 1-line block ×5, first 2 shown]
	v_add_f16_e32 v69, v23, v85
	v_fmac_f16_e32 v42, v29, v95
	v_fma_f16 v51, v62, v95, -v117
	v_fmac_f16_e32 v31, v33, v97
	v_fma_f16 v35, v64, v97, -v119
	v_fmac_f16_e32 v25, v36, v99
	v_fmac_f16_e32 v26, v38, v100
	v_fma_f16 v29, v68, v100, -v122
	v_fma_f16 v33, v80, v101, -v123
	v_fmac_f16_e32 v34, v54, v102
	v_fma_f16 v36, v77, v102, -v124
	v_fma_f16 v39, v74, v105, -v125
	v_fmac_f16_e32 v44, v52, v106
	v_fma_f16 v38, v71, v106, -v126
	v_add_f16_e32 v52, v85, v86
	v_add_f16_e32 v54, v83, v84
	;; [unrolled: 1-line block ×5, first 2 shown]
	v_mul_f16_e32 v71, 0xb853, v53
	v_mul_f16_e32 v72, 0xbb47, v53
	;; [unrolled: 1-line block ×25, first 2 shown]
	v_add_f16_e32 v69, v69, v83
	v_fmamk_f16 v98, v52, 0x3abb, v71
	v_fma_f16 v71, v52, 0x3abb, -v71
	v_fmamk_f16 v99, v52, 0x36a6, v72
	v_fma_f16 v72, v52, 0x36a6, -v72
	;; [unrolled: 2-line block ×25, first 2 shown]
	v_add_f16_e32 v68, v69, v61
	v_add_f16_e32 v69, v23, v98
	;; [unrolled: 1-line block ×58, first 2 shown]
	ds_write_b16 v41, v53 offset:12
	ds_write_b16 v41, v55 offset:24
	;; [unrolled: 1-line block ×9, first 2 shown]
	ds_write_b16 v41, v52
	ds_write_b16 v41, v54 offset:120
	s_and_saveexec_b32 s1, s0
	s_cbranch_execz .LBB0_18
; %bb.17:
	v_sub_f16_e32 v53, v51, v38
	v_add_f16_e32 v52, v42, v44
	v_sub_f16_e32 v55, v43, v39
	v_add_f16_e32 v54, v37, v40
	v_sub_f16_e32 v63, v35, v36
	v_mul_f16_e32 v69, 0xb482, v53
	v_add_f16_e32 v62, v31, v34
	v_mul_f16_e32 v71, 0x3853, v55
	v_sub_f16_e32 v65, v32, v33
	v_mul_f16_e32 v72, 0xba0c, v63
	v_fma_f16 v76, v52, 0xbbad, -v69
	v_add_f16_e32 v64, v27, v30
	v_fma_f16 v79, v54, 0x3abb, -v71
	v_sub_f16_e32 v68, v28, v29
	v_mul_f16_e32 v74, 0x3b47, v65
	v_add_f16_e32 v76, v8, v76
	v_fma_f16 v80, v62, 0xb93d, -v72
	v_fmac_f16_e32 v69, 0xbbad, v52
	v_add_f16_e32 v66, v25, v26
	v_mul_f16_e32 v75, 0xbbeb, v68
	v_add_f16_e32 v76, v79, v76
	v_mul_f16_e32 v77, 0xba0c, v53
	v_fma_f16 v87, v64, 0x36a6, -v74
	v_fmac_f16_e32 v71, 0x3abb, v54
	v_add_f16_e32 v69, v8, v69
	v_add_f16_e32 v76, v80, v76
	v_mul_f16_e32 v78, 0x3beb, v55
	v_fma_f16 v79, v66, 0xb08e, -v75
	v_fmac_f16_e32 v72, 0xb93d, v62
	v_fma_f16 v80, v52, 0xb93d, -v77
	v_add_f16_e32 v69, v71, v69
	v_add_f16_e32 v71, v87, v76
	v_fmac_f16_e32 v74, 0x36a6, v64
	v_fmac_f16_e32 v75, 0xb08e, v66
	v_add_f16_e32 v76, v8, v80
	v_add_f16_e32 v69, v72, v69
	;; [unrolled: 1-line block ×3, first 2 shown]
	v_fma_f16 v72, v54, 0xb08e, -v78
	v_mul_f16_e32 v79, 0xb853, v63
	v_fmac_f16_e32 v77, 0xb93d, v52
	v_add_f16_e32 v69, v74, v69
	v_fmac_f16_e32 v78, 0xb08e, v54
	v_add_f16_e32 v72, v72, v76
	v_fma_f16 v74, v62, 0x3abb, -v79
	v_mul_f16_e32 v76, 0xb482, v65
	v_add_f16_e32 v69, v75, v69
	v_add_f16_e32 v75, v8, v77
	v_mul_f16_e32 v77, 0xbbeb, v53
	v_add_f16_e32 v72, v74, v72
	v_fma_f16 v74, v64, 0xbbad, -v76
	v_fmac_f16_e32 v79, 0x3abb, v62
	v_add_f16_e32 v75, v78, v75
	v_mul_f16_e32 v78, 0x3482, v55
	v_add_f16_e32 v23, v8, v42
	v_add_f16_e32 v72, v74, v72
	v_fma_f16 v74, v52, 0xb08e, -v77
	v_fmac_f16_e32 v77, 0xb08e, v52
	v_mul_f16_e32 v80, 0x3b47, v68
	v_add_f16_e32 v75, v79, v75
	v_fmac_f16_e32 v76, 0xbbad, v64
	v_add_f16_e32 v74, v8, v74
	v_fma_f16 v79, v54, 0xbbad, -v78
	v_mul_f16_e32 v88, 0x3b47, v63
	v_add_f16_e32 v77, v8, v77
	v_fmac_f16_e32 v78, 0xbbad, v54
	v_add_f16_e32 v23, v23, v37
	v_fma_f16 v87, v66, 0x36a6, -v80
	v_add_f16_e32 v75, v76, v75
	v_add_f16_e32 v74, v79, v74
	v_fma_f16 v76, v62, 0x36a6, -v88
	v_mul_f16_e32 v79, 0xb853, v65
	v_fmac_f16_e32 v80, 0x36a6, v66
	v_add_f16_e32 v77, v78, v77
	v_fmac_f16_e32 v88, 0x36a6, v62
	v_add_f16_e32 v23, v23, v31
	v_add_f16_e32 v72, v87, v72
	;; [unrolled: 1-line block ×3, first 2 shown]
	v_fma_f16 v76, v64, 0x3abb, -v79
	v_mul_f16_e32 v87, 0xbb47, v53
	v_add_f16_e32 v75, v80, v75
	v_mul_f16_e32 v80, 0xba0c, v68
	v_add_f16_e32 v77, v88, v77
	v_fmac_f16_e32 v79, 0x3abb, v64
	v_add_f16_e32 v23, v23, v27
	v_add_f16_e32 v74, v76, v74
	v_fma_f16 v76, v52, 0x36a6, -v87
	v_mul_f16_e32 v78, 0xba0c, v55
	v_fma_f16 v90, v66, 0xb93d, -v80
	v_add_f16_e32 v77, v79, v77
	v_fmac_f16_e32 v80, 0xb93d, v66
	v_fmac_f16_e32 v87, 0x36a6, v52
	v_mul_f16_e32 v53, 0xb853, v53
	v_add_f16_e32 v23, v23, v25
	v_fma_f16 v88, v54, 0xb93d, -v78
	v_add_f16_e32 v74, v90, v74
	v_add_f16_e32 v77, v80, v77
	;; [unrolled: 1-line block ×3, first 2 shown]
	v_fmac_f16_e32 v78, 0xb93d, v54
	v_mul_f16_e32 v55, 0xbb47, v55
	v_fma_f16 v90, v52, 0x3abb, -v53
	v_fmac_f16_e32 v53, 0x3abb, v52
	v_add_f16_e32 v23, v23, v26
	v_add_f16_e32 v76, v8, v76
	v_mul_f16_e32 v89, 0x3482, v63
	v_add_f16_e32 v52, v78, v80
	v_fma_f16 v78, v54, 0x36a6, -v55
	v_mul_f16_e32 v63, 0xbbeb, v63
	v_add_f16_e32 v53, v8, v53
	v_fmac_f16_e32 v55, 0x36a6, v54
	v_add_f16_e32 v23, v23, v30
	v_add_f16_e32 v8, v8, v90
	;; [unrolled: 1-line block ×3, first 2 shown]
	v_mul_f16_e32 v88, 0x3beb, v65
	v_fma_f16 v54, v62, 0xb08e, -v63
	v_mul_f16_e32 v65, 0xba0c, v65
	v_add_f16_e32 v53, v55, v53
	v_fmac_f16_e32 v63, 0xb08e, v62
	v_fma_f16 v79, v62, 0xbbad, -v89
	v_fmac_f16_e32 v89, 0xbbad, v62
	v_add_f16_e32 v23, v23, v34
	v_add_f16_e32 v8, v78, v8
	v_fma_f16 v55, v64, 0xb93d, -v65
	v_mul_f16_e32 v62, 0xb482, v68
	v_add_f16_e32 v53, v63, v53
	v_fmac_f16_e32 v65, 0xb93d, v64
	v_add_f16_e32 v76, v79, v76
	v_fma_f16 v79, v64, 0xb08e, -v88
	v_mul_f16_e32 v87, 0x3853, v68
	v_add_f16_e32 v52, v89, v52
	v_fmac_f16_e32 v88, 0xb08e, v64
	v_add_f16_e32 v23, v23, v40
	v_add_f16_e32 v8, v54, v8
	v_mad_u32_u24 v64, 0x84, v24, 0
	v_lshlrev_b32_sdwa v58, v58, v1 dst_sel:DWORD dst_unused:UNUSED_PAD src0_sel:DWORD src1_sel:BYTE_0
	v_fma_f16 v54, v66, 0xbbad, -v62
	v_add_f16_e32 v53, v65, v53
	v_fmac_f16_e32 v62, 0xbbad, v66
	v_fma_f16 v63, v66, 0x3abb, -v87
	v_add_f16_e32 v52, v88, v52
	v_fmac_f16_e32 v87, 0x3abb, v66
	v_add_f16_e32 v23, v23, v44
	v_add_f16_e32 v65, v79, v76
	;; [unrolled: 1-line block ×3, first 2 shown]
	v_add3_u32 v55, v64, v58, v9
	v_add_f16_e32 v53, v62, v53
	v_add_f16_e32 v52, v87, v52
	;; [unrolled: 1-line block ×4, first 2 shown]
	ds_write_b16 v55, v23
	ds_write_b16 v55, v53 offset:12
	ds_write_b16 v55, v52 offset:24
	ds_write_b16 v55, v77 offset:36
	ds_write_b16 v55, v75 offset:48
	ds_write_b16 v55, v69 offset:60
	ds_write_b16 v55, v71 offset:72
	ds_write_b16 v55, v72 offset:84
	ds_write_b16 v55, v74 offset:96
	ds_write_b16 v55, v58 offset:108
	ds_write_b16 v55, v8 offset:120
.LBB0_18:
	s_or_b32 exec_lo, exec_lo, s1
	v_add_f16_e32 v8, v22, v82
	v_add_f16_e32 v23, v82, v46
	v_sub_f16_e32 v52, v85, v86
	v_add_f16_e32 v53, v81, v70
	v_sub_f16_e32 v54, v83, v84
	v_add_f16_e32 v8, v8, v81
	v_mul_f16_e32 v55, 0x3abb, v23
	v_mul_f16_e32 v58, 0x36a6, v23
	;; [unrolled: 1-line block ×4, first 2 shown]
	v_add_f16_e32 v8, v8, v73
	v_mul_f16_e32 v23, 0xbbad, v23
	v_mul_f16_e32 v64, 0x36a6, v53
	;; [unrolled: 1-line block ×3, first 2 shown]
	v_fmamk_f16 v68, v52, 0x3853, v55
	v_add_f16_e32 v8, v8, v49
	v_fmac_f16_e32 v55, 0xb853, v52
	v_fmamk_f16 v69, v52, 0x3b47, v58
	v_fmac_f16_e32 v58, 0xbb47, v52
	v_mul_f16_e32 v66, 0xbbad, v53
	v_add_f16_e32 v8, v8, v45
	v_fmamk_f16 v71, v52, 0x3beb, v62
	v_fmac_f16_e32 v62, 0xbbeb, v52
	v_fmamk_f16 v72, v52, 0x3a0c, v63
	v_fmac_f16_e32 v63, 0xba0c, v52
	v_add_f16_e32 v8, v8, v47
	v_fmamk_f16 v74, v52, 0x3482, v23
	v_fmac_f16_e32 v23, 0xb482, v52
	v_fmamk_f16 v52, v54, 0x3b47, v64
	v_fmac_f16_e32 v64, 0xbb47, v54
	v_add_f16_e32 v8, v8, v50
	v_fmamk_f16 v75, v54, 0x3a0c, v65
	v_add_f16_e32 v68, v22, v68
	v_add_f16_e32 v55, v22, v55
	;; [unrolled: 1-line block ×4, first 2 shown]
	v_fmac_f16_e32 v65, 0xba0c, v54
	v_add_f16_e32 v69, v22, v69
	v_add_f16_e32 v71, v22, v71
	;; [unrolled: 1-line block ×11, first 2 shown]
	v_fmamk_f16 v46, v54, 0xb482, v66
	v_fmac_f16_e32 v66, 0x3482, v54
	v_add_f16_e32 v55, v65, v58
	v_mul_f16_e32 v58, 0xb08e, v53
	v_mul_f16_e32 v53, 0x3abb, v53
	v_add_f16_e32 v48, v73, v48
	v_add_f16_e32 v62, v66, v62
	v_sub_f16_e32 v61, v61, v67
	v_fmamk_f16 v64, v54, 0xbbeb, v58
	v_fmac_f16_e32 v58, 0x3beb, v54
	v_fmamk_f16 v65, v54, 0xb853, v53
	v_mul_f16_e32 v66, 0xb08e, v48
	v_fmac_f16_e32 v53, 0x3853, v54
	v_add_f16_e32 v52, v75, v69
	v_add_f16_e32 v54, v58, v63
	;; [unrolled: 1-line block ×3, first 2 shown]
	v_fmamk_f16 v63, v61, 0x3beb, v66
	v_mul_f16_e32 v65, 0xbbad, v48
	v_add_f16_e32 v22, v53, v22
	v_fmac_f16_e32 v66, 0xbbeb, v61
	v_mul_f16_e32 v53, 0x36a6, v48
	v_add_f16_e32 v23, v63, v23
	v_fmamk_f16 v63, v61, 0xb482, v65
	v_add_f16_e32 v49, v49, v50
	v_add_f16_e32 v8, v66, v8
	v_fmamk_f16 v66, v61, 0xbb47, v53
	v_fmac_f16_e32 v53, 0x3b47, v61
	v_add_f16_e32 v52, v63, v52
	v_mul_f16_e32 v63, 0x3abb, v48
	v_mul_f16_e32 v48, 0xb93d, v48
	v_sub_f16_e32 v59, v59, v60
	v_add_f16_e32 v53, v53, v62
	v_mul_f16_e32 v60, 0xb93d, v49
	v_fmac_f16_e32 v65, 0x3482, v61
	v_fmamk_f16 v62, v61, 0x3a0c, v48
	v_fmamk_f16 v50, v61, 0x3853, v63
	v_fmac_f16_e32 v63, 0xb853, v61
	v_fmac_f16_e32 v48, 0xba0c, v61
	v_fmamk_f16 v61, v59, 0x3a0c, v60
	v_add_f16_e32 v58, v62, v58
	v_mul_f16_e32 v62, 0xb08e, v49
	v_fmac_f16_e32 v60, 0xba0c, v59
	v_add_f16_e32 v64, v64, v72
	v_add_f16_e32 v22, v48, v22
	;; [unrolled: 1-line block ×3, first 2 shown]
	v_mul_f16_e32 v48, 0x3abb, v49
	v_fmamk_f16 v61, v59, 0xbbeb, v62
	v_add_f16_e32 v8, v60, v8
	v_mul_f16_e32 v60, 0xbbad, v49
	v_mul_f16_e32 v49, 0x36a6, v49
	v_add_f16_e32 v50, v50, v64
	v_add_f16_e32 v54, v63, v54
	v_fmamk_f16 v63, v59, 0x3853, v48
	v_add_f16_e32 v52, v61, v52
	v_fmac_f16_e32 v48, 0xb853, v59
	v_fmamk_f16 v61, v59, 0x3482, v60
	v_add_f16_e32 v45, v45, v47
	v_fmamk_f16 v47, v59, 0xbb47, v49
	v_add_f16_e32 v46, v46, v71
	v_add_f16_e32 v55, v65, v55
	;; [unrolled: 1-line block ×4, first 2 shown]
	v_sub_f16_e32 v48, v56, v57
	v_mul_f16_e32 v50, 0xbbad, v45
	v_fmac_f16_e32 v49, 0x3b47, v59
	v_add_f16_e32 v67, v47, v58
	v_mul_f16_e32 v47, 0x3abb, v45
	v_add_f16_e32 v46, v66, v46
	v_fmamk_f16 v53, v48, 0x3482, v50
	v_mul_f16_e32 v70, 0xb93d, v45
	v_fmac_f16_e32 v50, 0xb482, v48
	v_fmac_f16_e32 v62, 0x3beb, v59
	v_add_f16_e32 v69, v49, v22
	v_fmamk_f16 v22, v48, 0xb853, v47
	v_add_f16_e32 v46, v63, v46
	v_add_f16_e32 v71, v53, v23
	v_fmamk_f16 v23, v48, 0x3a0c, v70
	v_add_f16_e32 v72, v50, v8
	v_lshlrev_b32_e32 v8, 1, v7
	v_add_f16_e32 v55, v62, v55
	v_fmac_f16_e32 v60, 0xb482, v59
	v_fmac_f16_e32 v47, 0x3853, v48
	v_add_f16_e32 v73, v22, v52
	v_mul_f16_e32 v74, 0x36a6, v45
	v_mul_f16_e32 v77, 0xb08e, v45
	v_add3_u32 v22, 0, v6, v9
	v_add_f16_e32 v76, v23, v46
	v_add3_u32 v23, 0, v8, v9
	v_add_f16_e32 v66, v60, v54
	v_add_f16_e32 v75, v47, v55
	v_fmac_f16_e32 v70, 0xba0c, v48
	v_fmamk_f16 v78, v48, 0xbb47, v74
	v_fmac_f16_e32 v74, 0x3b47, v48
	v_fmamk_f16 v79, v48, 0x3beb, v77
	v_fmac_f16_e32 v77, 0xbbeb, v48
	s_waitcnt lgkmcnt(0)
	s_barrier
	buffer_gl0_inv
	ds_read_u16 v53, v22
	ds_read_u16 v45, v23
	;; [unrolled: 1-line block ×3, first 2 shown]
	ds_read_u16 v46, v20 offset:396
	ds_read_u16 v47, v20 offset:528
	;; [unrolled: 1-line block ×15, first 2 shown]
	v_add_f16_e32 v65, v78, v65
	v_add_f16_e32 v64, v70, v64
	;; [unrolled: 1-line block ×5, first 2 shown]
	s_waitcnt lgkmcnt(0)
	s_barrier
	buffer_gl0_inv
	ds_write_b16 v41, v68
	ds_write_b16 v41, v71 offset:12
	ds_write_b16 v41, v73 offset:24
	;; [unrolled: 1-line block ×10, first 2 shown]
	s_and_saveexec_b32 s1, s0
	s_cbranch_execz .LBB0_20
; %bb.19:
	v_add_f16_e32 v41, v21, v51
	v_sub_f16_e32 v37, v37, v40
	v_add_f16_e32 v51, v51, v38
	v_sub_f16_e32 v42, v42, v44
	v_add_f16_e32 v44, v43, v39
	v_add_f16_e32 v40, v41, v43
	v_sub_f16_e32 v31, v31, v34
	v_mul_f16_e32 v41, 0x3abb, v51
	v_mul_f16_e32 v43, 0x36a6, v51
	;; [unrolled: 1-line block ×3, first 2 shown]
	v_add_f16_e32 v40, v40, v35
	v_mul_f16_e32 v65, 0xb93d, v51
	v_mul_f16_e32 v51, 0xbbad, v51
	;; [unrolled: 1-line block ×3, first 2 shown]
	v_fmamk_f16 v69, v42, 0x3853, v41
	v_add_f16_e32 v40, v40, v32
	v_fmac_f16_e32 v41, 0xb853, v42
	v_mul_f16_e32 v67, 0xb93d, v44
	v_fmamk_f16 v70, v42, 0x3b47, v43
	v_fmac_f16_e32 v43, 0xbb47, v42
	v_add_f16_e32 v40, v40, v28
	v_fmamk_f16 v71, v42, 0x3beb, v64
	v_fmac_f16_e32 v64, 0xbbeb, v42
	v_fmamk_f16 v72, v42, 0x3a0c, v65
	v_fmac_f16_e32 v65, 0xba0c, v42
	v_add_f16_e32 v40, v40, v29
	v_fmamk_f16 v73, v42, 0x3482, v51
	v_fmac_f16_e32 v51, 0xb482, v42
	v_fmamk_f16 v42, v37, 0x3b47, v66
	v_fmac_f16_e32 v66, 0xbb47, v37
	v_add_f16_e32 v40, v40, v33
	v_add_f16_e32 v41, v21, v41
	v_mul_f16_e32 v68, 0xbbad, v44
	v_fmamk_f16 v74, v37, 0x3a0c, v67
	v_add_f16_e32 v43, v21, v43
	v_add_f16_e32 v40, v40, v36
	v_fmac_f16_e32 v67, 0xba0c, v37
	v_add_f16_e32 v35, v35, v36
	v_add_f16_e32 v69, v21, v69
	;; [unrolled: 1-line block ×7, first 2 shown]
	v_mul_f16_e32 v34, 0xb08e, v35
	v_add_f16_e32 v38, v39, v38
	v_add_f16_e32 v39, v66, v41
	v_mul_f16_e32 v66, 0xb08e, v44
	v_mul_f16_e32 v44, 0x3abb, v44
	v_add_f16_e32 v71, v21, v71
	v_add_f16_e32 v64, v21, v64
	v_add_f16_e32 v72, v21, v72
	v_fmamk_f16 v36, v37, 0xbbeb, v66
	v_fmac_f16_e32 v66, 0x3beb, v37
	v_fmamk_f16 v67, v37, 0xb853, v44
	v_add_f16_e32 v21, v21, v51
	v_add_f16_e32 v42, v42, v69
	v_fmamk_f16 v41, v37, 0xb482, v68
	v_fmac_f16_e32 v68, 0x3482, v37
	v_fmac_f16_e32 v44, 0x3853, v37
	v_add_f16_e32 v37, v66, v40
	v_add_f16_e32 v40, v67, v65
	v_fmamk_f16 v65, v31, 0x3beb, v34
	v_mul_f16_e32 v66, 0xbbad, v35
	v_add_f16_e32 v51, v74, v70
	v_add_f16_e32 v21, v44, v21
	v_fmac_f16_e32 v34, 0xbbeb, v31
	v_mul_f16_e32 v44, 0x36a6, v35
	v_add_f16_e32 v42, v65, v42
	v_fmamk_f16 v65, v31, 0xb482, v66
	v_add_f16_e32 v41, v41, v71
	v_add_f16_e32 v64, v68, v64
	;; [unrolled: 1-line block ×3, first 2 shown]
	v_fmamk_f16 v39, v31, 0xbb47, v44
	v_fmac_f16_e32 v44, 0x3b47, v31
	v_add_f16_e32 v51, v65, v51
	v_mul_f16_e32 v65, 0x3abb, v35
	v_add_f16_e32 v32, v32, v33
	v_mul_f16_e32 v33, 0xb93d, v35
	v_add_f16_e32 v36, v36, v72
	v_add_f16_e32 v39, v39, v41
	;; [unrolled: 1-line block ×3, first 2 shown]
	v_fmamk_f16 v35, v31, 0x3853, v65
	v_fmac_f16_e32 v65, 0xb853, v31
	v_sub_f16_e32 v27, v27, v30
	v_mul_f16_e32 v30, 0xb93d, v32
	v_fmamk_f16 v44, v31, 0x3a0c, v33
	v_fmac_f16_e32 v66, 0x3482, v31
	v_add_f16_e32 v35, v35, v36
	v_add_f16_e32 v36, v65, v37
	v_fmac_f16_e32 v33, 0xba0c, v31
	v_fmamk_f16 v31, v27, 0x3a0c, v30
	v_add_f16_e32 v37, v44, v40
	v_mul_f16_e32 v40, 0xb08e, v32
	v_fmac_f16_e32 v30, 0xba0c, v27
	v_add_f16_e32 v43, v66, v43
	v_add_f16_e32 v31, v31, v42
	;; [unrolled: 1-line block ×3, first 2 shown]
	v_fmamk_f16 v42, v27, 0xbbeb, v40
	v_add_f16_e32 v30, v30, v34
	v_fmac_f16_e32 v40, 0x3beb, v27
	v_mul_f16_e32 v34, 0xbbad, v32
	v_mul_f16_e32 v33, 0x3abb, v32
	;; [unrolled: 1-line block ×3, first 2 shown]
	v_add_f16_e32 v28, v28, v29
	v_add_f16_e32 v40, v40, v43
	v_fmamk_f16 v43, v27, 0x3482, v34
	v_fmac_f16_e32 v34, 0xb482, v27
	v_sub_f16_e32 v25, v25, v26
	v_mul_f16_e32 v26, 0xbbad, v28
	v_fmamk_f16 v44, v27, 0x3853, v33
	v_add_f16_e32 v29, v43, v35
	v_fmamk_f16 v35, v27, 0xbb47, v32
	v_fmac_f16_e32 v32, 0x3b47, v27
	v_fmac_f16_e32 v33, 0xb853, v27
	v_add_f16_e32 v27, v34, v36
	v_fmamk_f16 v36, v25, 0x3482, v26
	v_add_f16_e32 v34, v35, v37
	v_mul_f16_e32 v35, 0x3abb, v28
	v_add_f16_e32 v21, v32, v21
	v_mul_f16_e32 v32, 0xb93d, v28
	v_add_f16_e32 v42, v42, v51
	v_fmac_f16_e32 v26, 0xb482, v25
	v_fmamk_f16 v37, v25, 0xb853, v35
	v_add_f16_e32 v39, v44, v39
	v_add_f16_e32 v31, v36, v31
	v_fmamk_f16 v36, v25, 0x3a0c, v32
	v_add_f16_e32 v26, v26, v30
	v_add_f16_e32 v30, v37, v42
	v_mov_b32_e32 v37, 1
	v_add_f16_e32 v33, v33, v41
	v_fmac_f16_e32 v32, 0xba0c, v25
	v_add_f16_e32 v36, v36, v39
	v_mul_f16_e32 v39, 0x36a6, v28
	v_mul_f16_e32 v28, 0xb08e, v28
	v_mad_u32_u24 v24, 0x84, v24, 0
	v_lshlrev_b32_sdwa v1, v37, v1 dst_sel:DWORD dst_unused:UNUSED_PAD src0_sel:DWORD src1_sel:BYTE_0
	v_add_f16_e32 v32, v32, v33
	v_fmamk_f16 v33, v25, 0xbb47, v39
	v_fmac_f16_e32 v35, 0x3853, v25
	v_fmac_f16_e32 v39, 0x3b47, v25
	v_fmamk_f16 v37, v25, 0x3beb, v28
	v_fmac_f16_e32 v28, 0xbbeb, v25
	v_add3_u32 v1, v24, v1, v9
	v_add_f16_e32 v24, v33, v29
	v_add_f16_e32 v35, v35, v40
	;; [unrolled: 1-line block ×5, first 2 shown]
	ds_write_b16 v1, v38
	ds_write_b16 v1, v31 offset:12
	ds_write_b16 v1, v30 offset:24
	;; [unrolled: 1-line block ×10, first 2 shown]
.LBB0_20:
	s_or_b32 exec_lo, exec_lo, s1
	v_and_b32_e32 v1, 0xff, v7
	v_mov_b32_e32 v21, 0xf83f
	s_waitcnt lgkmcnt(0)
	s_barrier
	buffer_gl0_inv
	v_mul_lo_u16 v1, 0xf9, v1
	v_mul_u32_u24_sdwa v24, v13, v21 dst_sel:DWORD dst_unused:UNUSED_PAD src0_sel:WORD_0 src1_sel:DWORD
	v_mul_u32_u24_sdwa v27, v14, v21 dst_sel:DWORD dst_unused:UNUSED_PAD src0_sel:WORD_0 src1_sel:DWORD
	;; [unrolled: 1-line block ×4, first 2 shown]
	v_lshrrev_b16 v25, 14, v1
	v_lshrrev_b32_e32 v24, 22, v24
	v_mov_b32_e32 v1, 0
	v_lshrrev_b32_e32 v31, 22, v27
	v_lshrrev_b32_e32 v33, 22, v30
	v_mul_lo_u16 v28, 0x42, v25
	v_mul_lo_u16 v29, 0x42, v24
	v_lshlrev_b64 v[24:25], 2, v[0:1]
	v_mul_u32_u24_sdwa v35, v18, v21 dst_sel:DWORD dst_unused:UNUSED_PAD src0_sel:WORD_0 src1_sel:DWORD
	v_mul_u32_u24_sdwa v21, v5, v21 dst_sel:DWORD dst_unused:UNUSED_PAD src0_sel:WORD_0 src1_sel:DWORD
	v_sub_nc_u16 v28, v7, v28
	v_mul_lo_u16 v7, 0x42, v31
	v_mov_b32_e32 v26, 2
	v_add_co_u32 v24, s0, s8, v24
	v_add_co_ci_u32_e64 v25, s0, s9, v25, s0
	v_sub_nc_u16 v29, v13, v29
	v_lshlrev_b32_sdwa v31, v26, v28 dst_sel:DWORD dst_unused:UNUSED_PAD src0_sel:DWORD src1_sel:BYTE_0
	v_mov_b32_e32 v76, 1
	global_load_dword v24, v[24:25], off offset:240
	v_mul_lo_u16 v25, 0x42, v33
	v_lshrrev_b32_e32 v33, 22, v34
	v_lshrrev_b32_e32 v34, 22, v35
	v_sub_nc_u16 v35, v14, v7
	v_lshrrev_b32_e32 v7, 22, v21
	v_sub_nc_u16 v21, v10, v25
	v_mul_lo_u16 v25, 0x42, v33
	v_mul_lo_u16 v33, 0x42, v34
	v_lshlrev_b32_sdwa v32, v26, v29 dst_sel:DWORD dst_unused:UNUSED_PAD src0_sel:DWORD src1_sel:WORD_0
	v_mul_lo_u16 v7, 0x42, v7
	v_lshlrev_b32_sdwa v34, v26, v35 dst_sel:DWORD dst_unused:UNUSED_PAD src0_sel:DWORD src1_sel:WORD_0
	v_sub_nc_u16 v25, v16, v25
	v_sub_nc_u16 v33, v18, v33
	v_lshlrev_b32_sdwa v36, v26, v21 dst_sel:DWORD dst_unused:UNUSED_PAD src0_sel:DWORD src1_sel:WORD_0
	v_sub_nc_u16 v37, v5, v7
	s_clause 0x3
	global_load_dword v31, v31, s[8:9] offset:240
	global_load_dword v32, v32, s[8:9] offset:240
	;; [unrolled: 1-line block ×4, first 2 shown]
	v_lshlrev_b32_sdwa v5, v26, v25 dst_sel:DWORD dst_unused:UNUSED_PAD src0_sel:DWORD src1_sel:WORD_0
	v_lshlrev_b32_sdwa v7, v26, v33 dst_sel:DWORD dst_unused:UNUSED_PAD src0_sel:DWORD src1_sel:WORD_0
	;; [unrolled: 1-line block ×3, first 2 shown]
	s_clause 0x2
	global_load_dword v38, v5, s[8:9] offset:240
	global_load_dword v39, v7, s[8:9] offset:240
	;; [unrolled: 1-line block ×3, first 2 shown]
	ds_read_u16 v40, v22
	ds_read_u16 v41, v23
	;; [unrolled: 1-line block ×3, first 2 shown]
	ds_read_u16 v43, v20 offset:396
	ds_read_u16 v44, v20 offset:528
	;; [unrolled: 1-line block ×15, first 2 shown]
	v_lshlrev_b32_sdwa v28, v76, v28 dst_sel:DWORD dst_unused:UNUSED_PAD src0_sel:DWORD src1_sel:BYTE_0
	v_lshlrev_b32_sdwa v29, v76, v29 dst_sel:DWORD dst_unused:UNUSED_PAD src0_sel:DWORD src1_sel:WORD_0
	v_lshlrev_b32_sdwa v35, v76, v35 dst_sel:DWORD dst_unused:UNUSED_PAD src0_sel:DWORD src1_sel:WORD_0
	;; [unrolled: 1-line block ×3, first 2 shown]
	v_mov_b32_e32 v5, v1
	v_lshlrev_b32_sdwa v25, v76, v25 dst_sel:DWORD dst_unused:UNUSED_PAD src0_sel:DWORD src1_sel:WORD_0
	s_waitcnt vmcnt(0) lgkmcnt(0)
	s_barrier
	buffer_gl0_inv
	v_lshrrev_b32_e32 v27, 23, v27
	v_lshlrev_b32_sdwa v33, v76, v33 dst_sel:DWORD dst_unused:UNUSED_PAD src0_sel:DWORD src1_sel:WORD_0
	v_lshlrev_b32_sdwa v37, v76, v37 dst_sel:DWORD dst_unused:UNUSED_PAD src0_sel:DWORD src1_sel:WORD_0
	v_add3_u32 v28, 0, v28, v9
	v_lshrrev_b32_e32 v30, 23, v30
	v_add3_u32 v29, 0, v29, v9
	v_mov_b32_e32 v7, v1
	v_add3_u32 v35, 0, v35, v9
	v_add3_u32 v21, 0, v21, v9
	v_lshlrev_b64 v[4:5], 2, v[4:5]
	v_add3_u32 v25, 0, v25, v9
	v_add3_u32 v33, 0, v33, v9
	;; [unrolled: 1-line block ×3, first 2 shown]
	v_lshlrev_b64 v[6:7], 2, v[6:7]
	v_add_co_u32 v4, s0, s8, v4
	v_add_co_ci_u32_e64 v5, s0, s9, v5, s0
	v_add_co_u32 v6, s0, s8, v6
	v_add_co_ci_u32_e64 v7, s0, s9, v7, s0
	v_mul_f16_sdwa v77, v66, v24 dst_sel:DWORD dst_unused:UNUSED_PAD src0_sel:DWORD src1_sel:WORD_1
	v_mul_f16_sdwa v79, v68, v24 dst_sel:DWORD dst_unused:UNUSED_PAD src0_sel:DWORD src1_sel:WORD_1
	;; [unrolled: 1-line block ×4, first 2 shown]
	v_fmac_f16_e32 v77, v62, v24
	v_fmac_f16_e32 v79, v63, v24
	v_fma_f16 v62, v66, v24, -v78
	v_fma_f16 v24, v68, v24, -v80
	v_sub_f16_e32 v63, v54, v77
	v_sub_f16_e32 v66, v53, v79
	v_sub_f16_e32 v62, v42, v62
	v_sub_f16_e32 v24, v40, v24
	ds_write_b16 v20, v63 offset:132
	ds_write_b16 v20, v66 offset:396
	v_mul_f16_sdwa v68, v69, v31 dst_sel:DWORD dst_unused:UNUSED_PAD src0_sel:DWORD src1_sel:WORD_1
	v_mul_f16_sdwa v77, v61, v31 dst_sel:DWORD dst_unused:UNUSED_PAD src0_sel:DWORD src1_sel:WORD_1
	;; [unrolled: 1-line block ×14, first 2 shown]
	v_fma_f16 v54, v54, 2.0, -v63
	v_fmac_f16_e32 v68, v61, v31
	v_fma_f16 v31, v69, v31, -v77
	v_fmac_f16_e32 v78, v60, v32
	v_fmac_f16_e32 v80, v59, v34
	;; [unrolled: 1-line block ×6, first 2 shown]
	v_fma_f16 v53, v53, 2.0, -v66
	v_fma_f16 v32, v70, v32, -v79
	v_fma_f16 v34, v71, v34, -v81
	;; [unrolled: 1-line block ×6, first 2 shown]
	ds_write_b16 v20, v54
	ds_write_b16 v20, v53 offset:264
	v_sub_f16_e32 v53, v45, v68
	v_sub_f16_e32 v31, v41, v31
	;; [unrolled: 1-line block ×8, first 2 shown]
	v_fma_f16 v42, v42, 2.0, -v62
	v_sub_f16_e32 v32, v43, v32
	v_sub_f16_e32 v34, v44, v34
	v_sub_f16_e32 v36, v51, v36
	v_sub_f16_e32 v38, v64, v38
	v_sub_f16_e32 v39, v65, v39
	v_sub_f16_e32 v26, v67, v26
	v_fma_f16 v40, v40, 2.0, -v24
	v_fma_f16 v45, v45, 2.0, -v53
	v_fma_f16 v41, v41, 2.0, -v31
	v_fma_f16 v46, v46, 2.0, -v54
	v_fma_f16 v47, v47, 2.0, -v55
	v_fma_f16 v48, v48, 2.0, -v56
	v_fma_f16 v49, v49, 2.0, -v57
	v_fma_f16 v50, v50, 2.0, -v58
	v_fma_f16 v52, v52, 2.0, -v59
	v_fma_f16 v43, v43, 2.0, -v32
	v_fma_f16 v44, v44, 2.0, -v34
	v_fma_f16 v51, v51, 2.0, -v36
	v_fma_f16 v60, v64, 2.0, -v38
	v_fma_f16 v61, v65, 2.0, -v39
	v_fma_f16 v63, v67, 2.0, -v26
	ds_write_b16 v28, v53 offset:660
	ds_write_b16 v29, v54 offset:924
	;; [unrolled: 1-line block ×14, first 2 shown]
	s_waitcnt lgkmcnt(0)
	s_barrier
	buffer_gl0_inv
	ds_read_u16 v45, v22
	ds_read_u16 v46, v23
	ds_read_u16 v47, v20 offset:924
	ds_read_u16 v48, v20 offset:1056
	;; [unrolled: 1-line block ×3, first 2 shown]
	ds_read_u16 v50, v19
	ds_read_u16 v52, v20 offset:396
	ds_read_u16 v53, v20 offset:528
	;; [unrolled: 1-line block ×12, first 2 shown]
	s_waitcnt lgkmcnt(0)
	s_barrier
	buffer_gl0_inv
	ds_write_b16 v20, v42
	ds_write_b16 v20, v62 offset:132
	ds_write_b16 v20, v40 offset:264
	;; [unrolled: 1-line block ×17, first 2 shown]
	v_mul_lo_u16 v21, 0x84, v27
	v_mul_lo_u16 v29, 0x84, v30
	v_mov_b32_e32 v28, 3
	s_waitcnt lgkmcnt(0)
	s_barrier
	v_sub_nc_u16 v21, v14, v21
	v_sub_nc_u16 v32, v10, v29
	buffer_gl0_inv
	s_clause 0x1
	global_load_dwordx2 v[24:25], v[4:5], off offset:504
	global_load_dwordx2 v[26:27], v[6:7], off offset:504
	v_lshlrev_b32_sdwa v29, v28, v21 dst_sel:DWORD dst_unused:UNUSED_PAD src0_sel:DWORD src1_sel:WORD_0
	v_lshlrev_b32_sdwa v30, v28, v32 dst_sel:DWORD dst_unused:UNUSED_PAD src0_sel:DWORD src1_sel:WORD_0
	s_clause 0x1
	global_load_dwordx2 v[28:29], v29, s[8:9] offset:504
	global_load_dwordx2 v[30:31], v30, s[8:9] offset:504
	v_lshlrev_b32_sdwa v21, v76, v21 dst_sel:DWORD dst_unused:UNUSED_PAD src0_sel:DWORD src1_sel:WORD_0
	v_lshlrev_b32_sdwa v32, v76, v32 dst_sel:DWORD dst_unused:UNUSED_PAD src0_sel:DWORD src1_sel:WORD_0
	v_add3_u32 v41, 0, v21, v9
	v_add3_u32 v9, 0, v32, v9
	ds_read_u16 v21, v20 offset:1584
	ds_read_u16 v32, v20 offset:792
	ds_read_u16 v33, v20 offset:924
	ds_read_u16 v42, v22
	ds_read_u16 v43, v23
	ds_read_u16 v34, v20 offset:1716
	ds_read_u16 v35, v20 offset:1848
	;; [unrolled: 1-line block ×4, first 2 shown]
	ds_read_u16 v44, v19
	ds_read_u16 v51, v20 offset:396
	ds_read_u16 v60, v20 offset:528
	;; [unrolled: 1-line block ×8, first 2 shown]
	s_waitcnt vmcnt(0) lgkmcnt(0)
	s_barrier
	buffer_gl0_inv
	v_mul_f16_sdwa v68, v32, v24 dst_sel:DWORD dst_unused:UNUSED_PAD src0_sel:DWORD src1_sel:WORD_1
	v_mul_f16_sdwa v70, v21, v25 dst_sel:DWORD dst_unused:UNUSED_PAD src0_sel:DWORD src1_sel:WORD_1
	;; [unrolled: 1-line block ×17, first 2 shown]
	v_fmac_f16_e32 v68, v55, v24
	v_fmac_f16_e32 v70, v66, v25
	v_mul_f16_sdwa v75, v57, v27 dst_sel:DWORD dst_unused:UNUSED_PAD src0_sel:DWORD src1_sel:WORD_1
	v_mul_f16_sdwa v79, v58, v25 dst_sel:DWORD dst_unused:UNUSED_PAD src0_sel:DWORD src1_sel:WORD_1
	;; [unrolled: 1-line block ×7, first 2 shown]
	v_fmac_f16_e32 v72, v47, v26
	v_fmac_f16_e32 v74, v57, v27
	;; [unrolled: 1-line block ×10, first 2 shown]
	v_fma_f16 v32, v32, v24, -v69
	v_fma_f16 v21, v21, v25, -v71
	;; [unrolled: 1-line block ×5, first 2 shown]
	v_add_f16_e32 v36, v68, v70
	v_fma_f16 v34, v34, v27, -v75
	v_fma_f16 v25, v35, v25, -v79
	v_fma_f16 v27, v39, v27, -v83
	v_fma_f16 v28, v38, v28, -v85
	v_fma_f16 v29, v40, v29, -v87
	v_fma_f16 v30, v63, v30, -v89
	v_fma_f16 v31, v62, v31, -v91
	v_add_f16_e32 v47, v72, v74
	v_add_f16_e32 v55, v46, v76
	;; [unrolled: 1-line block ×3, first 2 shown]
	v_sub_f16_e32 v62, v76, v78
	v_add_f16_e32 v64, v80, v82
	v_add_f16_e32 v69, v84, v86
	v_add_f16_e32 v76, v88, v90
	v_add_f16_e32 v35, v50, v68
	v_sub_f16_e32 v37, v32, v21
	v_add_f16_e32 v38, v44, v32
	v_add_f16_e32 v32, v32, v21
	;; [unrolled: 1-line block ×3, first 2 shown]
	v_fmac_f16_e32 v50, -0.5, v36
	v_add_f16_e32 v40, v45, v72
	v_sub_f16_e32 v39, v68, v70
	v_sub_f16_e32 v48, v33, v34
	v_add_f16_e32 v49, v42, v33
	v_add_f16_e32 v33, v33, v34
	v_sub_f16_e32 v54, v72, v74
	v_sub_f16_e32 v58, v24, v25
	v_add_f16_e32 v59, v43, v24
	v_add_f16_e32 v24, v24, v25
	;; [unrolled: 1-line block ×3, first 2 shown]
	v_sub_f16_e32 v65, v26, v27
	v_add_f16_e32 v26, v26, v27
	v_add_f16_e32 v68, v53, v84
	v_sub_f16_e32 v71, v28, v29
	v_add_f16_e32 v72, v60, v28
	v_add_f16_e32 v28, v28, v29
	v_add_f16_e32 v75, v56, v88
	v_sub_f16_e32 v77, v30, v31
	v_add_f16_e32 v79, v61, v30
	v_add_f16_e32 v30, v30, v31
	v_fmac_f16_e32 v45, -0.5, v47
	v_fmac_f16_e32 v46, -0.5, v57
	;; [unrolled: 1-line block ×5, first 2 shown]
	v_add_f16_e32 v35, v35, v70
	v_fmac_f16_e32 v44, -0.5, v32
	v_add_f16_e32 v32, v55, v78
	v_add_f16_e32 v55, v66, v27
	v_fmamk_f16 v27, v37, 0xbaee, v50
	v_fmac_f16_e32 v50, 0x3aee, v37
	v_add_f16_e32 v70, v38, v21
	v_add_f16_e32 v21, v40, v74
	;; [unrolled: 1-line block ×3, first 2 shown]
	v_fmac_f16_e32 v42, -0.5, v33
	v_add_f16_e32 v49, v59, v25
	v_fmac_f16_e32 v43, -0.5, v24
	v_add_f16_e32 v24, v63, v82
	;; [unrolled: 2-line block ×3, first 2 shown]
	v_add_f16_e32 v57, v72, v29
	v_fmac_f16_e32 v60, -0.5, v28
	v_add_f16_e32 v26, v75, v90
	v_add_f16_e32 v59, v79, v31
	v_fmac_f16_e32 v61, -0.5, v30
	v_fmamk_f16 v28, v48, 0xbaee, v45
	v_fmamk_f16 v29, v58, 0xbaee, v46
	;; [unrolled: 1-line block ×6, first 2 shown]
	v_fmac_f16_e32 v44, 0xbaee, v39
	v_fmac_f16_e32 v45, 0x3aee, v48
	;; [unrolled: 1-line block ×6, first 2 shown]
	ds_write_b16 v20, v35
	ds_write_b16 v20, v27 offset:264
	ds_write_b16 v20, v50 offset:528
	ds_write_b16 v22, v21
	ds_write_b16 v22, v28 offset:264
	ds_write_b16 v22, v45 offset:528
	;; [unrolled: 1-line block ×14, first 2 shown]
	s_waitcnt lgkmcnt(0)
	s_barrier
	buffer_gl0_inv
	ds_read_u16 v21, v22
	ds_read_u16 v25, v23
	ds_read_u16 v29, v20 offset:924
	ds_read_u16 v30, v20 offset:1056
	;; [unrolled: 1-line block ×3, first 2 shown]
	ds_read_u16 v24, v19
	ds_read_u16 v26, v20 offset:396
	ds_read_u16 v27, v20 offset:528
	;; [unrolled: 1-line block ×12, first 2 shown]
	v_sub_f16_e32 v67, v80, v82
	v_sub_f16_e32 v73, v84, v86
	;; [unrolled: 1-line block ×3, first 2 shown]
	v_fmamk_f16 v48, v54, 0x3aee, v42
	v_fmac_f16_e32 v42, 0xbaee, v54
	v_fmamk_f16 v54, v62, 0x3aee, v43
	v_fmac_f16_e32 v43, 0xbaee, v62
	;; [unrolled: 2-line block ×5, first 2 shown]
	s_waitcnt lgkmcnt(0)
	s_barrier
	buffer_gl0_inv
	ds_write_b16 v20, v70
	ds_write_b16 v20, v63 offset:264
	ds_write_b16 v20, v44 offset:528
	ds_write_b16 v22, v47
	ds_write_b16 v22, v48 offset:264
	ds_write_b16 v22, v42 offset:528
	ds_write_b16 v20, v49 offset:792
	ds_write_b16 v20, v54 offset:1056
	ds_write_b16 v20, v43 offset:1320
	ds_write_b16 v22, v55 offset:792
	ds_write_b16 v22, v58 offset:1056
	ds_write_b16 v22, v51 offset:1320
	ds_write_b16 v41, v57 offset:1584
	ds_write_b16 v41, v62 offset:1848
	ds_write_b16 v41, v60 offset:2112
	ds_write_b16 v9, v59 offset:1584
	ds_write_b16 v9, v64 offset:1848
	ds_write_b16 v9, v61 offset:2112
	s_waitcnt lgkmcnt(0)
	s_barrier
	buffer_gl0_inv
	s_and_saveexec_b32 s0, vcc_lo
	s_cbranch_execz .LBB0_22
; %bb.21:
	v_lshlrev_b32_e32 v41, 1, v10
	v_mov_b32_e32 v42, v1
	v_lshlrev_b32_e32 v43, 1, v14
	v_mov_b32_e32 v44, v1
	;; [unrolled: 2-line block ×3, first 2 shown]
	v_lshlrev_b64 v[41:42], 2, v[41:42]
	v_mov_b32_e32 v9, v1
	v_lshlrev_b64 v[43:44], 2, v[43:44]
	v_mul_hi_u32 v53, 0xa57eb503, v12
	v_lshlrev_b64 v[45:46], 2, v[45:46]
	v_mad_u64_u32 v[47:48], null, s2, v11, 0
	v_add_co_u32 v41, vcc_lo, s8, v41
	v_add_co_ci_u32_e32 v42, vcc_lo, s9, v42, vcc_lo
	v_add_co_u32 v43, vcc_lo, s8, v43
	v_lshlrev_b64 v[8:9], 2, v[8:9]
	v_add_co_ci_u32_e32 v44, vcc_lo, s9, v44, vcc_lo
	v_add_co_u32 v45, vcc_lo, s8, v45
	v_add_co_ci_u32_e32 v46, vcc_lo, s9, v46, vcc_lo
	v_add_co_u32 v8, vcc_lo, s8, v8
	v_add_co_ci_u32_e32 v9, vcc_lo, s9, v9, vcc_lo
	s_clause 0x5
	global_load_dwordx2 v[41:42], v[41:42], off offset:1560
	global_load_dwordx2 v[43:44], v[43:44], off offset:1560
	;; [unrolled: 1-line block ×6, first 2 shown]
	ds_read_u16 v67, v20 offset:2244
	ds_read_u16 v68, v20 offset:2112
	;; [unrolled: 1-line block ×8, first 2 shown]
	ds_read_u16 v75, v23
	ds_read_u16 v76, v22
	ds_read_u16 v77, v20 offset:1188
	ds_read_u16 v78, v20 offset:1056
	;; [unrolled: 1-line block ×7, first 2 shown]
	ds_read_u16 v84, v19
	v_mad_u64_u32 v[19:20], null, s2, v0, 0
	v_mad_u64_u32 v[22:23], null, s2, v17, 0
	v_mad_u64_u32 v[49:50], null, s2, v18, 0
	v_mul_hi_u32 v54, 0xa57eb503, v13
	v_mad_u64_u32 v[51:52], null, s2, v15, 0
	v_mul_hi_u32 v55, 0xa57eb503, v14
	v_add_co_u32 v85, vcc_lo, s12, v2
	v_mad_u64_u32 v[1:2], null, s2, v16, 0
	v_add_co_ci_u32_e32 v86, vcc_lo, s13, v3, vcc_lo
	v_mov_b32_e32 v3, v20
	v_lshrrev_b32_e32 v57, 8, v53
	v_mov_b32_e32 v20, v23
	v_mov_b32_e32 v23, v48
	;; [unrolled: 1-line block ×3, first 2 shown]
	v_lshrrev_b32_e32 v58, 8, v54
	v_mov_b32_e32 v50, v52
	v_lshrrev_b32_e32 v55, 8, v55
	v_mad_u32_u24 v62, 0x318, v57, v12
	v_mul_hi_u32 v56, 0xa57eb503, v10
	v_mad_u32_u24 v63, 0x318, v58, v13
	v_mad_u32_u24 v64, 0x318, v55, v14
	v_add_nc_u32_e32 v65, 0x18c, v62
	v_add_nc_u32_e32 v66, 0x318, v62
	;; [unrolled: 1-line block ×4, first 2 shown]
	v_lshrrev_b32_e32 v87, 8, v56
	v_add_nc_u32_e32 v90, 0x18c, v64
	v_mad_u64_u32 v[56:57], null, s2, v66, 0
	v_mad_u64_u32 v[58:59], null, s2, v88, 0
	;; [unrolled: 1-line block ×3, first 2 shown]
	v_add_nc_u32_e32 v91, 0x318, v64
	s_waitcnt vmcnt(2)
	v_mul_f16_sdwa v92, v30, v8 dst_sel:DWORD dst_unused:UNUSED_PAD src0_sel:DWORD src1_sel:WORD_1
	v_mul_f16_sdwa v93, v35, v9 dst_sel:DWORD dst_unused:UNUSED_PAD src0_sel:DWORD src1_sel:WORD_1
	s_waitcnt vmcnt(0)
	v_mad_u64_u32 v[52:53], null, s3, v0, v[3:4]
	v_mad_u64_u32 v[2:3], null, s3, v16, v[2:3]
	;; [unrolled: 1-line block ×8, first 2 shown]
	v_mov_b32_e32 v20, v52
	v_mad_u64_u32 v[54:55], null, s2, v64, 0
	v_mov_b32_e32 v23, v16
	v_mov_b32_e32 v50, v17
	v_mad_u64_u32 v[16:17], null, s2, v65, 0
	v_mov_b32_e32 v48, v53
	v_mov_b32_e32 v52, v11
	v_lshlrev_b64 v[18:19], 2, v[19:20]
	v_mov_b32_e32 v11, v13
	v_mov_b32_e32 v13, v15
	;; [unrolled: 1-line block ×3, first 2 shown]
	v_lshlrev_b64 v[0:1], 2, v[1:2]
	v_lshlrev_b64 v[2:3], 2, v[22:23]
	;; [unrolled: 1-line block ×5, first 2 shown]
	v_mad_u64_u32 v[51:52], null, s3, v62, v[11:12]
	v_mov_b32_e32 v11, v17
	v_mov_b32_e32 v17, v57
	v_add_co_u32 v18, vcc_lo, v85, v18
	v_mad_u64_u32 v[52:53], null, s3, v63, v[13:14]
	v_mov_b32_e32 v13, v59
	v_mov_b32_e32 v20, v61
	v_mad_u64_u32 v[61:62], null, s3, v64, v[15:16]
	v_mad_u64_u32 v[62:63], null, s3, v65, v[11:12]
	v_mad_u64_u32 v[63:64], null, s3, v66, v[17:18]
	v_mad_u64_u32 v[64:65], null, s3, v88, v[13:14]
	v_mad_u64_u32 v[65:66], null, s3, v89, v[20:21]
	v_mov_b32_e32 v13, v51
	v_mov_b32_e32 v15, v52
	;; [unrolled: 1-line block ×7, first 2 shown]
	v_add_co_ci_u32_e32 v19, vcc_lo, v86, v19, vcc_lo
	v_add_co_u32 v0, vcc_lo, v85, v0
	v_add_co_ci_u32_e32 v1, vcc_lo, v86, v1, vcc_lo
	v_lshlrev_b64 v[11:12], 2, v[12:13]
	v_lshlrev_b64 v[13:14], 2, v[14:15]
	;; [unrolled: 1-line block ×7, first 2 shown]
	v_mul_f16_sdwa v17, v40, v41 dst_sel:DWORD dst_unused:UNUSED_PAD src0_sel:DWORD src1_sel:WORD_1
	v_mul_f16_sdwa v20, v39, v42 dst_sel:DWORD dst_unused:UNUSED_PAD src0_sel:DWORD src1_sel:WORD_1
	s_waitcnt lgkmcnt(11)
	v_mul_f16_sdwa v59, v73, v41 dst_sel:DWORD dst_unused:UNUSED_PAD src0_sel:DWORD src1_sel:WORD_1
	v_mul_f16_sdwa v60, v67, v42 dst_sel:DWORD dst_unused:UNUSED_PAD src0_sel:DWORD src1_sel:WORD_1
	;; [unrolled: 1-line block ×4, first 2 shown]
	s_waitcnt lgkmcnt(7)
	v_mul_f16_sdwa v88, v77, v45 dst_sel:DWORD dst_unused:UNUSED_PAD src0_sel:DWORD src1_sel:WORD_1
	v_mul_f16_sdwa v89, v69, v46 dst_sel:DWORD dst_unused:UNUSED_PAD src0_sel:DWORD src1_sel:WORD_1
	s_waitcnt lgkmcnt(6)
	v_mul_f16_sdwa v94, v78, v8 dst_sel:DWORD dst_unused:UNUSED_PAD src0_sel:DWORD src1_sel:WORD_1
	v_mul_f16_sdwa v95, v70, v9 dst_sel:DWORD dst_unused:UNUSED_PAD src0_sel:DWORD src1_sel:WORD_1
	v_mul_f16_sdwa v96, v29, v6 dst_sel:DWORD dst_unused:UNUSED_PAD src0_sel:DWORD src1_sel:WORD_1
	v_mul_f16_sdwa v97, v32, v7 dst_sel:DWORD dst_unused:UNUSED_PAD src0_sel:DWORD src1_sel:WORD_1
	s_waitcnt lgkmcnt(5)
	v_mul_f16_sdwa v98, v79, v6 dst_sel:DWORD dst_unused:UNUSED_PAD src0_sel:DWORD src1_sel:WORD_1
	v_mul_f16_sdwa v99, v71, v7 dst_sel:DWORD dst_unused:UNUSED_PAD src0_sel:DWORD src1_sel:WORD_1
	;; [unrolled: 5-line block ×3, first 2 shown]
	v_add_co_u32 v2, vcc_lo, v85, v2
	v_add_co_ci_u32_e32 v3, vcc_lo, v86, v3, vcc_lo
	v_add_co_u32 v22, vcc_lo, v85, v22
	v_mul_f16_sdwa v63, v74, v43 dst_sel:DWORD dst_unused:UNUSED_PAD src0_sel:DWORD src1_sel:WORD_1
	v_mul_f16_sdwa v64, v68, v44 dst_sel:DWORD dst_unused:UNUSED_PAD src0_sel:DWORD src1_sel:WORD_1
	;; [unrolled: 1-line block ×4, first 2 shown]
	v_fma_f16 v17, v73, v41, -v17
	v_fma_f16 v20, v67, v42, -v20
	v_fmac_f16_e32 v59, v40, v41
	v_fmac_f16_e32 v60, v39, v42
	v_fma_f16 v39, v74, v43, -v61
	v_fma_f16 v40, v68, v44, -v62
	v_fmac_f16_e32 v88, v33, v45
	v_fmac_f16_e32 v89, v37, v46
	;; [unrolled: 4-line block ×5, first 2 shown]
	v_add_co_ci_u32_e32 v23, vcc_lo, v86, v23, vcc_lo
	v_add_co_u32 v47, vcc_lo, v85, v47
	v_add_co_ci_u32_e32 v48, vcc_lo, v86, v48, vcc_lo
	v_add_co_u32 v49, vcc_lo, v85, v49
	v_fmac_f16_e32 v63, v36, v43
	v_fmac_f16_e32 v64, v38, v44
	v_fma_f16 v36, v77, v45, -v65
	v_fma_f16 v38, v69, v46, -v66
	v_add_f16_e32 v4, v17, v20
	v_sub_f16_e32 v30, v17, v20
	s_waitcnt lgkmcnt(3)
	v_add_f16_e32 v17, v81, v17
	v_add_f16_e32 v31, v28, v59
	v_add_f16_e32 v32, v39, v40
	v_sub_f16_e32 v41, v39, v40
	s_waitcnt lgkmcnt(2)
	v_add_f16_e32 v39, v82, v39
	v_add_f16_e32 v72, v6, v7
	;; [unrolled: 5-line block ×3, first 2 shown]
	v_add_co_ci_u32_e32 v50, vcc_lo, v86, v50, vcc_lo
	v_add_co_u32 v11, vcc_lo, v85, v11
	v_add_f16_e32 v29, v59, v60
	v_add_f16_e32 v45, v88, v89
	;; [unrolled: 1-line block ×4, first 2 shown]
	v_add_co_ci_u32_e32 v12, vcc_lo, v86, v12, vcc_lo
	v_sub_f16_e32 v34, v63, v64
	v_add_f16_e32 v35, v63, v64
	v_add_f16_e32 v42, v27, v63
	v_add_f16_e32 v43, v36, v38
	v_sub_f16_e32 v46, v36, v38
	v_add_f16_e32 v36, v83, v36
	v_add_f16_e32 v61, v33, v37
	v_add_f16_e32 v63, v94, v95
	;; [unrolled: 4-line block ×3, first 2 shown]
	v_fma_f16 v40, -0.5, v72, v84
	v_fma_f16 v24, -0.5, v74, v24
	v_add_f16_e32 v6, v6, v7
	v_add_f16_e32 v7, v78, v103
	v_add_co_u32 v13, vcc_lo, v85, v13
	v_sub_f16_e32 v70, v8, v9
	v_add_f16_e32 v8, v76, v8
	v_add_f16_e32 v71, v21, v98
	v_add_co_ci_u32_e32 v14, vcc_lo, v86, v14, vcc_lo
	v_sub_f16_e32 v5, v59, v60
	v_add_f16_e32 v59, v26, v88
	v_sub_f16_e32 v68, v98, v99
	v_fma_f16 v28, -0.5, v29, v28
	v_fma_f16 v29, -0.5, v32, v82
	;; [unrolled: 1-line block ×5, first 2 shown]
	v_add_co_u32 v15, vcc_lo, v85, v15
	v_sub_f16_e32 v44, v88, v89
	v_sub_f16_e32 v62, v94, v95
	;; [unrolled: 1-line block ×3, first 2 shown]
	v_add_f16_e32 v33, v75, v33
	v_add_f16_e32 v66, v25, v94
	v_fma_f16 v79, -0.5, v4, v81
	v_fma_f16 v27, -0.5, v35, v27
	;; [unrolled: 1-line block ×3, first 2 shown]
	v_add_f16_e32 v35, v36, v38
	v_fma_f16 v38, -0.5, v61, v75
	v_fma_f16 v25, -0.5, v63, v25
	v_fmamk_f16 v60, v73, 0xbaee, v40
	v_fmamk_f16 v61, v77, 0x3aee, v24
	v_fmac_f16_e32 v40, 0x3aee, v73
	v_pack_b32_f16 v6, v7, v6
	v_fmac_f16_e32 v24, 0xbaee, v77
	v_add_co_ci_u32_e32 v16, vcc_lo, v86, v16, vcc_lo
	v_add_co_u32 v53, vcc_lo, v85, v53
	v_add_f16_e32 v8, v8, v9
	v_add_f16_e32 v9, v71, v99
	;; [unrolled: 1-line block ×3, first 2 shown]
	v_fmamk_f16 v43, v30, 0x3aee, v28
	v_fmac_f16_e32 v28, 0xbaee, v30
	v_fmamk_f16 v30, v34, 0xbaee, v29
	v_fmac_f16_e32 v29, 0x3aee, v34
	;; [unrolled: 2-line block ×3, first 2 shown]
	v_fmamk_f16 v46, v68, 0xbaee, v39
	v_fmamk_f16 v59, v70, 0x3aee, v21
	v_fmac_f16_e32 v39, 0x3aee, v68
	v_fmac_f16_e32 v21, 0xbaee, v70
	v_add_co_ci_u32_e32 v54, vcc_lo, v86, v54, vcc_lo
	v_add_co_u32 v55, vcc_lo, v85, v55
	v_add_f16_e32 v32, v42, v64
	v_add_f16_e32 v33, v33, v37
	;; [unrolled: 1-line block ×3, first 2 shown]
	v_fmamk_f16 v42, v5, 0xbaee, v79
	v_fmac_f16_e32 v79, 0x3aee, v5
	v_fmamk_f16 v45, v41, 0x3aee, v27
	v_fmac_f16_e32 v27, 0xbaee, v41
	;; [unrolled: 2-line block ×3, first 2 shown]
	v_fmamk_f16 v41, v62, 0xbaee, v38
	v_fmamk_f16 v44, v65, 0x3aee, v25
	v_fmac_f16_e32 v38, 0x3aee, v62
	v_fmac_f16_e32 v25, 0xbaee, v65
	global_store_dword v[18:19], v6, off
	v_pack_b32_f16 v6, v24, v40
	v_pack_b32_f16 v18, v61, v60
	v_add_co_ci_u32_e32 v56, vcc_lo, v86, v56, vcc_lo
	v_pack_b32_f16 v7, v9, v8
	v_add_co_u32 v57, vcc_lo, v85, v57
	v_pack_b32_f16 v19, v21, v39
	v_pack_b32_f16 v21, v59, v46
	v_add_co_ci_u32_e32 v58, vcc_lo, v86, v58, vcc_lo
	v_pack_b32_f16 v8, v37, v33
	v_pack_b32_f16 v9, v36, v35
	;; [unrolled: 1-line block ×6, first 2 shown]
	global_store_dword v[0:1], v6, off
	global_store_dword v[2:3], v18, off
	;; [unrolled: 1-line block ×11, first 2 shown]
	v_mad_u32_u24 v12, 0x318, v87, v10
	v_mad_u64_u32 v[0:1], null, s2, v90, 0
	v_mad_u64_u32 v[2:3], null, s2, v91, 0
	v_mad_u64_u32 v[6:7], null, s2, v12, 0
	v_add_co_u32 v4, vcc_lo, v85, v51
	v_add_nc_u32_e32 v14, 0x18c, v12
	v_add_co_ci_u32_e32 v5, vcc_lo, v86, v52, vcc_lo
	v_mad_u64_u32 v[8:9], null, s3, v90, v[1:2]
	v_mad_u64_u32 v[9:10], null, s3, v91, v[3:4]
	v_mov_b32_e32 v3, v7
	v_mad_u64_u32 v[10:11], null, s2, v14, 0
	v_pack_b32_f16 v13, v32, v31
	v_mov_b32_e32 v1, v8
	v_mad_u64_u32 v[7:8], null, s3, v12, v[3:4]
	v_add_nc_u32_e32 v12, 0x318, v12
	v_mov_b32_e32 v3, v9
	global_store_dword v[4:5], v13, off
	v_mov_b32_e32 v4, v11
	v_lshlrev_b64 v[0:1], 2, v[0:1]
	v_mad_u64_u32 v[8:9], null, s2, v12, 0
	v_lshlrev_b64 v[6:7], 2, v[6:7]
	v_mad_u64_u32 v[4:5], null, s3, v14, v[4:5]
	v_lshlrev_b64 v[2:3], 2, v[2:3]
	v_add_co_u32 v0, vcc_lo, v85, v0
	v_mov_b32_e32 v5, v9
	v_add_co_ci_u32_e32 v1, vcc_lo, v86, v1, vcc_lo
	v_mov_b32_e32 v11, v4
	v_add_co_u32 v2, vcc_lo, v85, v2
	v_mad_u64_u32 v[12:13], null, s3, v12, v[5:6]
	v_lshlrev_b64 v[4:5], 2, v[10:11]
	v_add_co_ci_u32_e32 v3, vcc_lo, v86, v3, vcc_lo
	v_add_co_u32 v6, vcc_lo, v85, v6
	v_add_co_ci_u32_e32 v7, vcc_lo, v86, v7, vcc_lo
	v_mov_b32_e32 v9, v12
	v_add_co_u32 v4, vcc_lo, v85, v4
	v_pack_b32_f16 v14, v27, v29
	v_pack_b32_f16 v13, v45, v30
	v_lshlrev_b64 v[8:9], 2, v[8:9]
	v_add_co_ci_u32_e32 v5, vcc_lo, v86, v5, vcc_lo
	v_pack_b32_f16 v10, v20, v17
	v_pack_b32_f16 v11, v28, v79
	;; [unrolled: 1-line block ×3, first 2 shown]
	v_add_co_u32 v8, vcc_lo, v85, v8
	v_add_co_ci_u32_e32 v9, vcc_lo, v86, v9, vcc_lo
	global_store_dword v[0:1], v14, off
	global_store_dword v[2:3], v13, off
	;; [unrolled: 1-line block ×5, first 2 shown]
.LBB0_22:
	s_endpgm
	.section	.rodata,"a",@progbits
	.p2align	6, 0x0
	.amdhsa_kernel fft_rtc_back_len1188_factors_6_11_2_3_3_wgs_198_tpt_66_halfLds_half_ip_CI_sbrr_dirReg
		.amdhsa_group_segment_fixed_size 0
		.amdhsa_private_segment_fixed_size 0
		.amdhsa_kernarg_size 88
		.amdhsa_user_sgpr_count 6
		.amdhsa_user_sgpr_private_segment_buffer 1
		.amdhsa_user_sgpr_dispatch_ptr 0
		.amdhsa_user_sgpr_queue_ptr 0
		.amdhsa_user_sgpr_kernarg_segment_ptr 1
		.amdhsa_user_sgpr_dispatch_id 0
		.amdhsa_user_sgpr_flat_scratch_init 0
		.amdhsa_user_sgpr_private_segment_size 0
		.amdhsa_wavefront_size32 1
		.amdhsa_uses_dynamic_stack 0
		.amdhsa_system_sgpr_private_segment_wavefront_offset 0
		.amdhsa_system_sgpr_workgroup_id_x 1
		.amdhsa_system_sgpr_workgroup_id_y 0
		.amdhsa_system_sgpr_workgroup_id_z 0
		.amdhsa_system_sgpr_workgroup_info 0
		.amdhsa_system_vgpr_workitem_id 0
		.amdhsa_next_free_vgpr 127
		.amdhsa_next_free_sgpr 23
		.amdhsa_reserve_vcc 1
		.amdhsa_reserve_flat_scratch 0
		.amdhsa_float_round_mode_32 0
		.amdhsa_float_round_mode_16_64 0
		.amdhsa_float_denorm_mode_32 3
		.amdhsa_float_denorm_mode_16_64 3
		.amdhsa_dx10_clamp 1
		.amdhsa_ieee_mode 1
		.amdhsa_fp16_overflow 0
		.amdhsa_workgroup_processor_mode 1
		.amdhsa_memory_ordered 1
		.amdhsa_forward_progress 0
		.amdhsa_shared_vgpr_count 0
		.amdhsa_exception_fp_ieee_invalid_op 0
		.amdhsa_exception_fp_denorm_src 0
		.amdhsa_exception_fp_ieee_div_zero 0
		.amdhsa_exception_fp_ieee_overflow 0
		.amdhsa_exception_fp_ieee_underflow 0
		.amdhsa_exception_fp_ieee_inexact 0
		.amdhsa_exception_int_div_zero 0
	.end_amdhsa_kernel
	.text
.Lfunc_end0:
	.size	fft_rtc_back_len1188_factors_6_11_2_3_3_wgs_198_tpt_66_halfLds_half_ip_CI_sbrr_dirReg, .Lfunc_end0-fft_rtc_back_len1188_factors_6_11_2_3_3_wgs_198_tpt_66_halfLds_half_ip_CI_sbrr_dirReg
                                        ; -- End function
	.section	.AMDGPU.csdata,"",@progbits
; Kernel info:
; codeLenInByte = 14852
; NumSgprs: 25
; NumVgprs: 127
; ScratchSize: 0
; MemoryBound: 0
; FloatMode: 240
; IeeeMode: 1
; LDSByteSize: 0 bytes/workgroup (compile time only)
; SGPRBlocks: 3
; VGPRBlocks: 15
; NumSGPRsForWavesPerEU: 25
; NumVGPRsForWavesPerEU: 127
; Occupancy: 8
; WaveLimiterHint : 1
; COMPUTE_PGM_RSRC2:SCRATCH_EN: 0
; COMPUTE_PGM_RSRC2:USER_SGPR: 6
; COMPUTE_PGM_RSRC2:TRAP_HANDLER: 0
; COMPUTE_PGM_RSRC2:TGID_X_EN: 1
; COMPUTE_PGM_RSRC2:TGID_Y_EN: 0
; COMPUTE_PGM_RSRC2:TGID_Z_EN: 0
; COMPUTE_PGM_RSRC2:TIDIG_COMP_CNT: 0
	.text
	.p2alignl 6, 3214868480
	.fill 48, 4, 3214868480
	.type	__hip_cuid_464042f8ca4883d8,@object ; @__hip_cuid_464042f8ca4883d8
	.section	.bss,"aw",@nobits
	.globl	__hip_cuid_464042f8ca4883d8
__hip_cuid_464042f8ca4883d8:
	.byte	0                               ; 0x0
	.size	__hip_cuid_464042f8ca4883d8, 1

	.ident	"AMD clang version 19.0.0git (https://github.com/RadeonOpenCompute/llvm-project roc-6.4.0 25133 c7fe45cf4b819c5991fe208aaa96edf142730f1d)"
	.section	".note.GNU-stack","",@progbits
	.addrsig
	.addrsig_sym __hip_cuid_464042f8ca4883d8
	.amdgpu_metadata
---
amdhsa.kernels:
  - .args:
      - .actual_access:  read_only
        .address_space:  global
        .offset:         0
        .size:           8
        .value_kind:     global_buffer
      - .offset:         8
        .size:           8
        .value_kind:     by_value
      - .actual_access:  read_only
        .address_space:  global
        .offset:         16
        .size:           8
        .value_kind:     global_buffer
      - .actual_access:  read_only
        .address_space:  global
        .offset:         24
        .size:           8
        .value_kind:     global_buffer
      - .offset:         32
        .size:           8
        .value_kind:     by_value
      - .actual_access:  read_only
        .address_space:  global
        .offset:         40
        .size:           8
        .value_kind:     global_buffer
      - .actual_access:  read_only
        .address_space:  global
        .offset:         48
        .size:           8
        .value_kind:     global_buffer
      - .offset:         56
        .size:           4
        .value_kind:     by_value
      - .actual_access:  read_only
        .address_space:  global
        .offset:         64
        .size:           8
        .value_kind:     global_buffer
      - .actual_access:  read_only
        .address_space:  global
        .offset:         72
        .size:           8
        .value_kind:     global_buffer
      - .address_space:  global
        .offset:         80
        .size:           8
        .value_kind:     global_buffer
    .group_segment_fixed_size: 0
    .kernarg_segment_align: 8
    .kernarg_segment_size: 88
    .language:       OpenCL C
    .language_version:
      - 2
      - 0
    .max_flat_workgroup_size: 198
    .name:           fft_rtc_back_len1188_factors_6_11_2_3_3_wgs_198_tpt_66_halfLds_half_ip_CI_sbrr_dirReg
    .private_segment_fixed_size: 0
    .sgpr_count:     25
    .sgpr_spill_count: 0
    .symbol:         fft_rtc_back_len1188_factors_6_11_2_3_3_wgs_198_tpt_66_halfLds_half_ip_CI_sbrr_dirReg.kd
    .uniform_work_group_size: 1
    .uses_dynamic_stack: false
    .vgpr_count:     127
    .vgpr_spill_count: 0
    .wavefront_size: 32
    .workgroup_processor_mode: 1
amdhsa.target:   amdgcn-amd-amdhsa--gfx1030
amdhsa.version:
  - 1
  - 2
...

	.end_amdgpu_metadata
